;; amdgpu-corpus repo=ROCm/rocFFT kind=compiled arch=gfx950 opt=O3
	.text
	.amdgcn_target "amdgcn-amd-amdhsa--gfx950"
	.amdhsa_code_object_version 6
	.protected	fft_rtc_fwd_len544_factors_17_2_16_wgs_102_tpt_34_halfLds_sp_op_CI_CI_unitstride_sbrr_R2C_dirReg ; -- Begin function fft_rtc_fwd_len544_factors_17_2_16_wgs_102_tpt_34_halfLds_sp_op_CI_CI_unitstride_sbrr_R2C_dirReg
	.globl	fft_rtc_fwd_len544_factors_17_2_16_wgs_102_tpt_34_halfLds_sp_op_CI_CI_unitstride_sbrr_R2C_dirReg
	.p2align	8
	.type	fft_rtc_fwd_len544_factors_17_2_16_wgs_102_tpt_34_halfLds_sp_op_CI_CI_unitstride_sbrr_R2C_dirReg,@function
fft_rtc_fwd_len544_factors_17_2_16_wgs_102_tpt_34_halfLds_sp_op_CI_CI_unitstride_sbrr_R2C_dirReg: ; @fft_rtc_fwd_len544_factors_17_2_16_wgs_102_tpt_34_halfLds_sp_op_CI_CI_unitstride_sbrr_R2C_dirReg
; %bb.0:
	s_load_dwordx4 s[4:7], s[0:1], 0x58
	s_load_dwordx4 s[8:11], s[0:1], 0x0
	;; [unrolled: 1-line block ×3, first 2 shown]
	v_mul_u32_u24_e32 v1, 0x788, v0
	v_lshrrev_b32_e32 v2, 16, v1
	v_mad_u64_u32 v[4:5], s[2:3], s2, 3, v[2:3]
	v_mov_b32_e32 v6, 0
	v_mov_b32_e32 v5, v6
	s_waitcnt lgkmcnt(0)
	v_cmp_lt_u64_e64 s[2:3], s[10:11], 2
	v_mov_b64_e32 v[2:3], 0
	s_and_b64 vcc, exec, s[2:3]
	v_mov_b64_e32 v[32:33], v[2:3]
	v_mov_b64_e32 v[34:35], v[4:5]
	s_cbranch_vccnz .LBB0_8
; %bb.1:
	s_load_dwordx2 s[2:3], s[0:1], 0x10
	s_add_u32 s16, s14, 8
	s_addc_u32 s17, s15, 0
	s_add_u32 s18, s12, 8
	s_addc_u32 s19, s13, 0
	s_waitcnt lgkmcnt(0)
	s_add_u32 s20, s2, 8
	v_mov_b64_e32 v[2:3], 0
	s_addc_u32 s21, s3, 0
	s_mov_b64 s[22:23], 1
	v_mov_b64_e32 v[32:33], v[2:3]
	v_mov_b64_e32 v[8:9], v[4:5]
.LBB0_2:                                ; =>This Inner Loop Header: Depth=1
	s_load_dwordx2 s[24:25], s[20:21], 0x0
                                        ; implicit-def: $vgpr34_vgpr35
	s_waitcnt lgkmcnt(0)
	v_or_b32_e32 v7, s25, v9
	v_cmp_ne_u64_e32 vcc, 0, v[6:7]
	s_and_saveexec_b64 s[2:3], vcc
	s_xor_b64 s[26:27], exec, s[2:3]
	s_cbranch_execz .LBB0_4
; %bb.3:                                ;   in Loop: Header=BB0_2 Depth=1
	v_cvt_f32_u32_e32 v1, s24
	v_cvt_f32_u32_e32 v5, s25
	s_sub_u32 s2, 0, s24
	s_subb_u32 s3, 0, s25
	v_fmac_f32_e32 v1, 0x4f800000, v5
	v_rcp_f32_e32 v1, v1
	s_nop 0
	v_mul_f32_e32 v1, 0x5f7ffffc, v1
	v_mul_f32_e32 v5, 0x2f800000, v1
	v_trunc_f32_e32 v5, v5
	v_fmac_f32_e32 v1, 0xcf800000, v5
	v_cvt_u32_f32_e32 v5, v5
	v_cvt_u32_f32_e32 v1, v1
	v_mul_lo_u32 v7, s2, v5
	v_mul_hi_u32 v10, s2, v1
	v_mul_lo_u32 v11, s3, v1
	v_add_u32_e32 v7, v10, v7
	v_mul_lo_u32 v14, s2, v1
	v_add_u32_e32 v7, v7, v11
	v_mul_hi_u32 v10, v1, v14
	v_mul_hi_u32 v13, v1, v7
	v_mul_lo_u32 v12, v1, v7
	v_mov_b32_e32 v11, v6
	v_lshl_add_u64 v[10:11], v[10:11], 0, v[12:13]
	v_mul_hi_u32 v13, v5, v14
	v_mul_lo_u32 v14, v5, v14
	v_add_co_u32_e32 v10, vcc, v10, v14
	v_mul_hi_u32 v12, v5, v7
	s_nop 0
	v_addc_co_u32_e32 v10, vcc, v11, v13, vcc
	v_mov_b32_e32 v11, v6
	s_nop 0
	v_addc_co_u32_e32 v13, vcc, 0, v12, vcc
	v_mul_lo_u32 v12, v5, v7
	v_lshl_add_u64 v[10:11], v[10:11], 0, v[12:13]
	v_add_co_u32_e32 v1, vcc, v1, v10
	v_mul_hi_u32 v10, s2, v1
	s_nop 0
	v_addc_co_u32_e32 v5, vcc, v5, v11, vcc
	v_mul_lo_u32 v7, s2, v5
	v_add_u32_e32 v7, v10, v7
	v_mul_lo_u32 v10, s3, v1
	v_add_u32_e32 v7, v7, v10
	v_mul_lo_u32 v12, s2, v1
	v_mul_hi_u32 v15, v5, v12
	v_mul_lo_u32 v16, v5, v12
	v_mul_hi_u32 v11, v1, v7
	;; [unrolled: 2-line block ×3, first 2 shown]
	v_mov_b32_e32 v13, v6
	v_lshl_add_u64 v[10:11], v[12:13], 0, v[10:11]
	v_add_co_u32_e32 v10, vcc, v10, v16
	v_mul_hi_u32 v14, v5, v7
	s_nop 0
	v_addc_co_u32_e32 v10, vcc, v11, v15, vcc
	v_mul_lo_u32 v12, v5, v7
	s_nop 0
	v_addc_co_u32_e32 v13, vcc, 0, v14, vcc
	v_mov_b32_e32 v11, v6
	v_lshl_add_u64 v[10:11], v[10:11], 0, v[12:13]
	v_add_co_u32_e32 v1, vcc, v1, v10
	v_mul_hi_u32 v12, v8, v1
	s_nop 0
	v_addc_co_u32_e32 v5, vcc, v5, v11, vcc
	v_mad_u64_u32 v[10:11], s[2:3], v8, v5, 0
	v_mov_b32_e32 v13, v6
	v_lshl_add_u64 v[10:11], v[12:13], 0, v[10:11]
	v_mad_u64_u32 v[14:15], s[2:3], v9, v1, 0
	v_add_co_u32_e32 v1, vcc, v10, v14
	v_mad_u64_u32 v[12:13], s[2:3], v9, v5, 0
	s_nop 0
	v_addc_co_u32_e32 v10, vcc, v11, v15, vcc
	v_mov_b32_e32 v11, v6
	s_nop 0
	v_addc_co_u32_e32 v13, vcc, 0, v13, vcc
	v_lshl_add_u64 v[10:11], v[10:11], 0, v[12:13]
	v_mul_lo_u32 v1, s25, v10
	v_mul_lo_u32 v5, s24, v11
	v_mad_u64_u32 v[12:13], s[2:3], s24, v10, 0
	v_add3_u32 v1, v13, v5, v1
	v_sub_u32_e32 v5, v9, v1
	v_mov_b32_e32 v7, s25
	v_sub_co_u32_e32 v16, vcc, v8, v12
	v_lshl_add_u64 v[14:15], v[10:11], 0, 1
	s_nop 0
	v_subb_co_u32_e64 v5, s[2:3], v5, v7, vcc
	v_subrev_co_u32_e64 v7, s[2:3], s24, v16
	v_subb_co_u32_e32 v1, vcc, v9, v1, vcc
	s_nop 0
	v_subbrev_co_u32_e64 v5, s[2:3], 0, v5, s[2:3]
	v_cmp_le_u32_e64 s[2:3], s25, v5
	v_cmp_le_u32_e32 vcc, s25, v1
	s_nop 0
	v_cndmask_b32_e64 v12, 0, -1, s[2:3]
	v_cmp_le_u32_e64 s[2:3], s24, v7
	s_nop 1
	v_cndmask_b32_e64 v7, 0, -1, s[2:3]
	v_cmp_eq_u32_e64 s[2:3], s25, v5
	s_nop 1
	v_cndmask_b32_e64 v5, v12, v7, s[2:3]
	v_lshl_add_u64 v[12:13], v[10:11], 0, 2
	v_cmp_ne_u32_e64 s[2:3], 0, v5
	v_cndmask_b32_e64 v7, 0, -1, vcc
	v_cmp_le_u32_e32 vcc, s24, v16
	v_cndmask_b32_e64 v5, v15, v13, s[2:3]
	s_nop 0
	v_cndmask_b32_e64 v13, 0, -1, vcc
	v_cmp_eq_u32_e32 vcc, s25, v1
	s_nop 1
	v_cndmask_b32_e32 v1, v7, v13, vcc
	v_cmp_ne_u32_e32 vcc, 0, v1
	v_cndmask_b32_e64 v1, v14, v12, s[2:3]
	s_nop 0
	v_cndmask_b32_e32 v35, v11, v5, vcc
	v_cndmask_b32_e32 v34, v10, v1, vcc
.LBB0_4:                                ;   in Loop: Header=BB0_2 Depth=1
	s_andn2_saveexec_b64 s[2:3], s[26:27]
	s_cbranch_execz .LBB0_6
; %bb.5:                                ;   in Loop: Header=BB0_2 Depth=1
	v_cvt_f32_u32_e32 v1, s24
	s_sub_i32 s26, 0, s24
	v_mov_b32_e32 v35, v6
	v_rcp_iflag_f32_e32 v1, v1
	s_nop 0
	v_mul_f32_e32 v1, 0x4f7ffffe, v1
	v_cvt_u32_f32_e32 v1, v1
	v_mul_lo_u32 v5, s26, v1
	v_mul_hi_u32 v5, v1, v5
	v_add_u32_e32 v1, v1, v5
	v_mul_hi_u32 v1, v8, v1
	v_mul_lo_u32 v5, v1, s24
	v_sub_u32_e32 v5, v8, v5
	v_add_u32_e32 v7, 1, v1
	v_subrev_u32_e32 v10, s24, v5
	v_cmp_le_u32_e32 vcc, s24, v5
	s_nop 1
	v_cndmask_b32_e32 v5, v5, v10, vcc
	v_cndmask_b32_e32 v1, v1, v7, vcc
	v_add_u32_e32 v7, 1, v1
	v_cmp_le_u32_e32 vcc, s24, v5
	s_nop 1
	v_cndmask_b32_e32 v34, v1, v7, vcc
.LBB0_6:                                ;   in Loop: Header=BB0_2 Depth=1
	s_or_b64 exec, exec, s[2:3]
	v_mad_u64_u32 v[10:11], s[2:3], v34, s24, 0
	s_load_dwordx2 s[2:3], s[18:19], 0x0
	s_add_u32 s22, s22, 1
	v_mul_lo_u32 v1, v35, s24
	v_mul_lo_u32 v5, v34, s25
	s_load_dwordx2 s[24:25], s[16:17], 0x0
	s_addc_u32 s23, s23, 0
	v_add3_u32 v1, v11, v5, v1
	v_sub_co_u32_e32 v5, vcc, v8, v10
	s_add_u32 s16, s16, 8
	s_nop 0
	v_subb_co_u32_e32 v1, vcc, v9, v1, vcc
	s_addc_u32 s17, s17, 0
	s_waitcnt lgkmcnt(0)
	v_mul_lo_u32 v7, s2, v1
	v_mul_lo_u32 v8, s3, v5
	v_mad_u64_u32 v[2:3], s[2:3], s2, v5, v[2:3]
	s_add_u32 s18, s18, 8
	v_add3_u32 v3, v8, v3, v7
	s_addc_u32 s19, s19, 0
	v_mov_b64_e32 v[8:9], s[10:11]
	v_mul_lo_u32 v1, s24, v1
	v_mul_lo_u32 v7, s25, v5
	v_mad_u64_u32 v[32:33], s[2:3], s24, v5, v[32:33]
	s_add_u32 s20, s20, 8
	v_cmp_ge_u64_e32 vcc, s[22:23], v[8:9]
	v_add3_u32 v33, v7, v33, v1
	s_addc_u32 s21, s21, 0
	s_cbranch_vccnz .LBB0_8
; %bb.7:                                ;   in Loop: Header=BB0_2 Depth=1
	v_mov_b64_e32 v[8:9], v[34:35]
	s_branch .LBB0_2
.LBB0_8:
	s_load_dwordx2 s[0:1], s[0:1], 0x28
	s_lshl_b64 s[10:11], s[10:11], 3
	s_add_u32 s2, s14, s10
	s_mov_b32 s14, 0xaaaaaaab
	v_mul_hi_u32 v1, v4, s14
	v_lshrrev_b32_e32 v1, 1, v1
	v_lshl_add_u32 v1, v1, 1, v1
	s_addc_u32 s3, s15, s11
	v_sub_u32_e32 v1, v4, v1
	s_waitcnt lgkmcnt(0)
	v_cmp_gt_u64_e32 vcc, s[0:1], v[34:35]
	v_cmp_le_u64_e64 s[0:1], s[0:1], v[34:35]
                                        ; implicit-def: $vgpr36
	s_and_saveexec_b64 s[14:15], s[0:1]
	s_xor_b64 s[0:1], exec, s[14:15]
; %bb.9:
	s_mov_b32 s14, 0x7878788
	v_mul_hi_u32 v2, v0, s14
	v_mul_u32_u24_e32 v2, 34, v2
	v_sub_u32_e32 v36, v0, v2
                                        ; implicit-def: $vgpr0
                                        ; implicit-def: $vgpr2_vgpr3
; %bb.10:
	s_or_saveexec_b64 s[0:1], s[0:1]
	v_mul_u32_u24_e32 v1, 0x221, v1
	v_lshlrev_b32_e32 v68, 3, v1
	s_xor_b64 exec, exec, s[0:1]
	s_cbranch_execz .LBB0_12
; %bb.11:
	s_add_u32 s10, s12, s10
	s_addc_u32 s11, s13, s11
	s_load_dwordx2 s[10:11], s[10:11], 0x0
	s_mov_b32 s12, 0x7878788
	s_waitcnt lgkmcnt(0)
	v_mul_lo_u32 v1, s11, v34
	v_mul_lo_u32 v6, s10, v35
	v_mad_u64_u32 v[4:5], s[10:11], s10, v34, 0
	v_add3_u32 v5, v5, v6, v1
	v_mul_hi_u32 v1, v0, s12
	v_mul_u32_u24_e32 v1, 34, v1
	v_sub_u32_e32 v36, v0, v1
	v_lshl_add_u64 v[0:1], v[4:5], 3, s[4:5]
	v_lshl_add_u64 v[0:1], v[2:3], 3, v[0:1]
	v_lshlrev_b32_e32 v2, 3, v36
	v_mov_b32_e32 v3, 0
	v_lshl_add_u64 v[0:1], v[0:1], 0, v[2:3]
	global_load_dwordx2 v[4:5], v[0:1], off
	global_load_dwordx2 v[6:7], v[0:1], off offset:272
	global_load_dwordx2 v[8:9], v[0:1], off offset:544
	;; [unrolled: 1-line block ×14, first 2 shown]
	s_nop 0
	global_load_dwordx2 v[0:1], v[0:1], off offset:4080
	v_add3_u32 v2, 0, v68, v2
	v_add_u32_e32 v3, 0x800, v2
	s_waitcnt vmcnt(14)
	ds_write2_b64 v2, v[4:5], v[6:7] offset1:34
	s_waitcnt vmcnt(12)
	ds_write2_b64 v2, v[8:9], v[10:11] offset0:68 offset1:102
	s_waitcnt vmcnt(10)
	ds_write2_b64 v2, v[12:13], v[14:15] offset0:136 offset1:170
	;; [unrolled: 2-line block ×7, first 2 shown]
.LBB0_12:
	s_or_b64 exec, exec, s[0:1]
	v_lshlrev_b32_e32 v76, 3, v36
	v_add_u32_e32 v74, 0, v68
	v_add3_u32 v37, 0, v76, v68
	v_add_u32_e32 v75, v74, v76
	v_add_u32_e32 v57, 0x400, v37
	;; [unrolled: 1-line block ×3, first 2 shown]
	s_waitcnt lgkmcnt(0)
	s_barrier
	ds_read_b64 v[62:63], v75
	ds_read2_b64 v[28:31], v37 offset0:32 offset1:64
	ds_read2_b64 v[24:27], v37 offset0:96 offset1:128
	;; [unrolled: 1-line block ×7, first 2 shown]
	v_add_u32_e32 v4, 0xc00, v37
	ds_read2_b64 v[4:7], v4 offset0:96 offset1:128
	v_cmp_gt_u32_e64 s[0:1], 32, v36
	s_waitcnt lgkmcnt(0)
	s_barrier
	s_and_saveexec_b64 s[4:5], s[0:1]
	s_cbranch_execz .LBB0_14
; %bb.13:
	v_pk_add_f32 v[48:49], v[6:7], v[28:29]
	v_pk_add_f32 v[50:51], v[28:29], v[6:7] neg_lo:[0,1] neg_hi:[0,1]
	v_pk_add_f32 v[28:29], v[62:63], v[28:29]
	v_pk_add_f32 v[46:47], v[4:5], v[30:31]
	v_pk_add_f32 v[52:53], v[30:31], v[4:5] neg_lo:[0,1] neg_hi:[0,1]
	v_pk_add_f32 v[30:31], v[28:29], v[30:31]
	;; [unrolled: 3-line block ×3, first 2 shown]
	v_pk_add_f32 v[42:43], v[0:1], v[26:27]
	v_accvgpr_write_b32 a0, v57
	v_pk_add_f32 v[56:57], v[26:27], v[0:1] neg_lo:[0,1] neg_hi:[0,1]
	v_pk_add_f32 v[26:27], v[24:25], v[26:27]
	v_pk_add_f32 v[40:41], v[10:11], v[20:21]
	v_pk_add_f32 v[58:59], v[20:21], v[10:11] neg_lo:[0,1] neg_hi:[0,1]
	v_pk_add_f32 v[20:21], v[26:27], v[20:21]
	v_pk_add_f32 v[28:29], v[8:9], v[22:23]
	;; [unrolled: 3-line block ×3, first 2 shown]
	v_pk_add_f32 v[30:31], v[12:13], v[18:19] neg_lo:[0,1] neg_hi:[0,1]
	v_pk_add_f32 v[12:13], v[22:23], v[12:13]
	s_mov_b32 s40, 0x3f6eb680
	v_pk_add_f32 v[12:13], v[12:13], v[14:15]
	v_mov_b32_e32 v96, v48
	v_pk_add_f32 v[12:13], v[12:13], v[16:17]
	v_mov_b32_e32 v97, v50
	v_pk_add_f32 v[12:13], v[12:13], v[18:19]
	s_mov_b32 s41, 0xbeb8f4ab
	v_pk_add_f32 v[8:9], v[12:13], v[8:9]
	s_mov_b32 s48, 0x3f3d2fb0
	v_pk_add_f32 v[8:9], v[8:9], v[10:11]
	v_mov_b32_e32 v48, v51
	v_pk_add_f32 v[0:1], v[8:9], v[0:1]
	s_mov_b32 s0, s41
	v_pk_add_f32 v[0:1], v[0:1], v[2:3]
	s_mov_b32 s1, s40
	v_pk_add_f32 v[0:1], v[0:1], v[4:5]
	v_mov_b32_e32 v120, v46
	v_pk_add_f32 v[64:65], v[0:1], v[6:7]
	v_pk_mul_f32 v[0:1], v[96:97], s[40:41]
	v_mov_b32_e32 v121, v52
	v_accvgpr_write_b32 a5, v1
	s_mov_b32 s49, 0xbf2c7751
	v_pk_fma_f32 v[4:5], v[48:49], s[0:1], v[0:1] neg_lo:[1,0,0] neg_hi:[1,0,0]
	v_pk_fma_f32 v[2:3], v[48:49], s[0:1], v[0:1]
	v_accvgpr_write_b32 a4, v0
	v_pk_mul_f32 v[0:1], v[120:121], s[48:49]
	s_mov_b32 s56, 0x3ee437d1
	v_mov_b32_e32 v46, v53
	s_mov_b32 s10, s49
	s_mov_b32 s11, s48
	v_accvgpr_write_b32 a9, v1
	v_mov_b32_e32 v118, v44
	v_mov_b32_e32 v119, v54
	s_mov_b32 s57, 0xbf65296c
	v_mov_b32_e32 v5, v3
	v_accvgpr_write_b32 a2, v2
	v_pk_fma_f32 v[10:11], v[46:47], s[10:11], v[0:1] neg_lo:[1,0,0] neg_hi:[1,0,0]
	v_pk_fma_f32 v[2:3], v[46:47], s[10:11], v[0:1]
	v_accvgpr_write_b32 a8, v0
	v_pk_mul_f32 v[0:1], v[118:119], s[56:57]
	s_mov_b32 s44, 0x3dbcf732
	v_mov_b32_e32 v44, v55
	s_mov_b32 s12, s57
	s_mov_b32 s13, s56
	v_accvgpr_write_b32 a13, v1
	v_mov_b32_e32 v126, v42
	v_mov_b32_e32 v127, v56
	s_mov_b32 s45, 0xbf7ee86f
	v_pk_add_f32 v[20:21], v[16:17], v[14:15]
	v_pk_add_f32 v[66:67], v[14:15], v[16:17] neg_lo:[0,1] neg_hi:[0,1]
	v_mov_b32_e32 v11, v3
	v_accvgpr_write_b32 a6, v2
	v_pk_fma_f32 v[14:15], v[44:45], s[12:13], v[0:1] neg_lo:[1,0,0] neg_hi:[1,0,0]
	v_pk_fma_f32 v[2:3], v[44:45], s[12:13], v[0:1]
	v_accvgpr_write_b32 a12, v0
	v_pk_mul_f32 v[0:1], v[126:127], s[44:45]
	s_mov_b32 s38, 0xbe8c1d8e
	v_mov_b32_e32 v42, v57
	s_mov_b32 s14, s45
	s_mov_b32 s15, s44
	v_accvgpr_write_b32 a17, v1
	v_mov_b32_e32 v128, v40
	v_mov_b32_e32 v129, v58
	s_mov_b32 s39, 0xbf763a35
	v_pk_add_f32 v[8:9], v[62:63], v[4:5]
	v_mov_b32_e32 v15, v3
	v_accvgpr_write_b32 a10, v2
	v_pk_fma_f32 v[18:19], v[42:43], s[14:15], v[0:1] neg_lo:[1,0,0] neg_hi:[1,0,0]
	v_pk_fma_f32 v[2:3], v[42:43], s[14:15], v[0:1]
	v_accvgpr_write_b32 a16, v0
	v_pk_mul_f32 v[0:1], v[128:129], s[38:39]
	s_mov_b32 s42, 0xbf1a4643
	v_pk_add_f32 v[12:13], v[10:11], v[8:9]
	v_mov_b32_e32 v40, v59
	s_mov_b32 s16, s39
	s_mov_b32 s17, s38
	v_accvgpr_write_b32 a21, v1
	v_mov_b32_e32 v130, v28
	v_mov_b32_e32 v131, v60
	s_mov_b32 s43, 0xbf4c4adb
	v_pk_add_f32 v[16:17], v[14:15], v[12:13]
	v_mov_b32_e32 v19, v3
	v_accvgpr_write_b32 a14, v2
	v_pk_fma_f32 v[26:27], v[40:41], s[16:17], v[0:1] neg_lo:[1,0,0] neg_hi:[1,0,0]
	v_pk_fma_f32 v[2:3], v[40:41], s[16:17], v[0:1]
	v_accvgpr_write_b32 a20, v0
	v_pk_mul_f32 v[0:1], v[130:131], s[42:43]
	s_mov_b32 s46, 0xbf59a7d5
	v_pk_add_f32 v[22:23], v[18:19], v[16:17]
	v_mov_b32_e32 v27, v3
	v_mov_b32_e32 v28, v61
	s_mov_b32 s18, s43
	s_mov_b32 s19, s42
	v_accvgpr_write_b32 a23, v1
	v_mov_b32_e32 v132, v24
	v_mov_b32_e32 v133, v30
	s_mov_b32 s47, 0xbf06c442
	v_pk_add_f32 v[50:51], v[26:27], v[22:23]
	v_pk_fma_f32 v[52:53], v[28:29], s[18:19], v[0:1] neg_lo:[1,0,0] neg_hi:[1,0,0]
	v_pk_fma_f32 v[22:23], v[28:29], s[18:19], v[0:1]
	v_accvgpr_write_b32 a22, v0
	v_mov_b32_e32 v24, v31
	s_mov_b32 s20, s47
	s_mov_b32 s21, s46
	v_pk_mul_f32 v[0:1], v[132:133], s[46:47]
	s_mov_b32 s52, 0xbf7ba420
	v_mov_b32_e32 v53, v23
	v_pk_fma_f32 v[54:55], v[24:25], s[20:21], v[0:1] neg_lo:[1,0,0] neg_hi:[1,0,0]
	v_pk_fma_f32 v[30:31], v[24:25], s[20:21], v[0:1]
	v_accvgpr_write_b32 a25, v1
	v_mov_b32_e32 v134, v20
	v_mov_b32_e32 v135, v66
	s_mov_b32 s53, 0xbe3c28d5
	v_pk_add_f32 v[52:53], v[52:53], v[50:51]
	v_accvgpr_write_b32 a24, v0
	v_mov_b32_e32 v55, v31
	v_mov_b32_e32 v20, v67
	s_mov_b32 s22, s53
	s_mov_b32 s23, s52
	v_pk_mul_f32 v[0:1], v[134:135], s[52:53]
	v_pk_add_f32 v[56:57], v[54:55], v[52:53]
	v_pk_fma_f32 v[58:59], v[20:21], s[22:23], v[0:1] neg_lo:[1,0,0] neg_hi:[1,0,0]
	v_pk_fma_f32 v[52:53], v[20:21], s[22:23], v[0:1]
	v_accvgpr_write_b32 a27, v1
	v_accvgpr_write_b32 a26, v0
	v_mov_b32_e32 v59, v53
	v_mul_u32_u24_e32 v0, 0x88, v36
	v_pk_add_f32 v[56:57], v[58:59], v[56:57]
	v_add3_u32 v18, 0, v0, v68
	v_pk_mul_f32 v[0:1], v[96:97], s[48:49]
	ds_write2_b64 v18, v[64:65], v[56:57] offset1:1
	v_pk_fma_f32 v[60:61], v[48:49], s[10:11], v[0:1] neg_lo:[1,0,0] neg_hi:[1,0,0]
	v_pk_fma_f32 v[56:57], v[48:49], s[10:11], v[0:1]
	v_accvgpr_write_b32 a29, v1
	v_accvgpr_write_b32 a28, v0
	v_mov_b32_e32 v61, v57
	v_pk_mul_f32 v[0:1], v[120:121], s[44:45]
	v_pk_add_f32 v[64:65], v[62:63], v[60:61]
	v_pk_fma_f32 v[66:67], v[46:47], s[14:15], v[0:1] neg_lo:[1,0,0] neg_hi:[1,0,0]
	v_pk_fma_f32 v[60:61], v[46:47], s[14:15], v[0:1]
	v_accvgpr_write_b32 a1, v68
	v_mov_b32_e32 v67, v61
	v_pk_add_f32 v[68:69], v[66:67], v[64:65]
	v_pk_mul_f32 v[66:67], v[118:119], s[42:43]
	v_mov_b32_e32 v19, v74
	v_pk_fma_f32 v[70:71], v[44:45], s[18:19], v[66:67] neg_lo:[1,0,0] neg_hi:[1,0,0]
	v_pk_fma_f32 v[64:65], v[44:45], s[18:19], v[66:67]
	v_mov_b32_e32 v23, v75
	v_mov_b32_e32 v71, v65
	v_pk_add_f32 v[72:73], v[70:71], v[68:69]
	v_pk_mul_f32 v[70:71], v[126:127], s[52:53]
	s_mov_b32 s65, 0x3f06c442
	v_pk_fma_f32 v[74:75], v[42:43], s[22:23], v[70:71] neg_lo:[1,0,0] neg_hi:[1,0,0]
	v_pk_fma_f32 v[68:69], v[42:43], s[22:23], v[70:71]
	s_mov_b32 s64, s46
	v_mov_b32_e32 v75, v69
	v_mov_b32_e32 v31, v76
	;; [unrolled: 1-line block ×3, first 2 shown]
	v_pk_add_f32 v[76:77], v[74:75], v[72:73]
	s_mov_b32 s24, s65
	s_mov_b32 s25, s46
	v_pk_mul_f32 v[74:75], v[128:129], s[64:65]
	s_mov_b32 s63, 0x3f763a35
	v_pk_fma_f32 v[78:79], v[40:41], s[24:25], v[74:75] neg_lo:[1,0,0] neg_hi:[1,0,0]
	v_pk_fma_f32 v[72:73], v[40:41], s[24:25], v[74:75]
	s_mov_b32 s62, s38
	v_mov_b32_e32 v79, v73
	v_pk_add_f32 v[80:81], v[78:79], v[76:77]
	s_mov_b32 s26, s63
	s_mov_b32 s27, s38
	v_pk_mul_f32 v[78:79], v[130:131], s[62:63]
	s_mov_b32 s55, 0x3f65296c
	v_pk_fma_f32 v[82:83], v[28:29], s[26:27], v[78:79] neg_lo:[1,0,0] neg_hi:[1,0,0]
	v_pk_fma_f32 v[76:77], v[28:29], s[26:27], v[78:79]
	s_mov_b32 s54, s56
	v_mov_b32_e32 v83, v77
	;; [unrolled: 9-line block ×3, first 2 shown]
	v_pk_add_f32 v[88:89], v[86:87], v[84:85]
	s_mov_b32 s30, s59
	s_mov_b32 s31, s40
	v_pk_mul_f32 v[86:87], v[134:135], s[58:59]
	v_accvgpr_write_b32 a31, v1
	v_pk_fma_f32 v[90:91], v[20:21], s[30:31], v[86:87] neg_lo:[1,0,0] neg_hi:[1,0,0]
	v_pk_fma_f32 v[84:85], v[20:21], s[30:31], v[86:87]
	v_accvgpr_write_b32 a30, v0
	v_mov_b32_e32 v91, v85
	v_pk_add_f32 v[0:1], v[90:91], v[88:89]
	v_pk_mul_f32 v[88:89], v[96:97], s[56:57]
	v_pk_mul_f32 v[58:59], v[120:121], s[42:43]
	v_pk_fma_f32 v[92:93], v[48:49], s[12:13], v[88:89] neg_lo:[1,0,0] neg_hi:[1,0,0]
	v_pk_fma_f32 v[90:91], v[48:49], s[12:13], v[88:89]
	v_pk_fma_f32 v[100:101], v[46:47], s[18:19], v[58:59] neg_lo:[1,0,0] neg_hi:[1,0,0]
	v_mov_b32_e32 v93, v91
	v_pk_add_f32 v[98:99], v[62:63], v[92:93]
	v_pk_fma_f32 v[92:93], v[46:47], s[18:19], v[58:59]
	s_mov_b32 s37, 0x3e3c28d5
	v_mov_b32_e32 v101, v93
	s_mov_b32 s36, s52
	v_pk_add_f32 v[102:103], v[100:101], v[98:99]
	s_mov_b32 s34, s37
	s_mov_b32 s35, s52
	v_pk_mul_f32 v[100:101], v[118:119], s[36:37]
	s_mov_b32 s61, 0x3f2c7751
	v_pk_fma_f32 v[104:105], v[44:45], s[34:35], v[100:101] neg_lo:[1,0,0] neg_hi:[1,0,0]
	v_pk_fma_f32 v[98:99], v[44:45], s[34:35], v[100:101]
	s_mov_b32 s60, s48
	v_mov_b32_e32 v105, v99
	v_pk_add_f32 v[106:107], v[104:105], v[102:103]
	v_pk_mul_f32 v[104:105], v[126:127], s[62:63]
	s_mov_b32 s36, s61
	v_pk_fma_f32 v[108:109], v[42:43], s[26:27], v[104:105] neg_lo:[1,0,0] neg_hi:[1,0,0]
	v_pk_fma_f32 v[102:103], v[42:43], s[26:27], v[104:105]
	s_mov_b32 s37, s48
	v_mov_b32_e32 v109, v103
	v_pk_add_f32 v[110:111], v[108:109], v[106:107]
	v_pk_mul_f32 v[108:109], v[128:129], s[60:61]
	v_pk_mul_f32 v[54:55], v[96:97], s[44:45]
	v_pk_fma_f32 v[112:113], v[40:41], s[36:37], v[108:109] neg_lo:[1,0,0] neg_hi:[1,0,0]
	v_pk_fma_f32 v[106:107], v[40:41], s[36:37], v[108:109]
	v_pk_mul_f32 v[50:51], v[120:121], s[52:53]
	v_mov_b32_e32 v113, v107
	v_pk_add_f32 v[114:115], v[112:113], v[110:111]
	v_pk_mul_f32 v[112:113], v[130:131], s[40:41]
	v_pk_fma_f32 v[146:147], v[46:47], s[22:23], v[50:51] neg_lo:[1,0,0] neg_hi:[1,0,0]
	v_pk_fma_f32 v[116:117], v[28:29], s[0:1], v[112:113] neg_lo:[1,0,0] neg_hi:[1,0,0]
	v_pk_fma_f32 v[110:111], v[28:29], s[0:1], v[112:113]
	s_mov_b32 s67, 0x3f4c4adb
	v_mov_b32_e32 v117, v111
	v_pk_add_f32 v[122:123], v[116:117], v[114:115]
	v_pk_mul_f32 v[116:117], v[132:133], s[44:45]
	s_mov_b32 s66, s42
	v_pk_fma_f32 v[124:125], v[24:25], s[14:15], v[116:117] neg_lo:[1,0,0] neg_hi:[1,0,0]
	v_pk_fma_f32 v[114:115], v[24:25], s[14:15], v[116:117]
	s_mov_b32 s50, s67
	v_mov_b32_e32 v125, v115
	v_pk_add_f32 v[138:139], v[124:125], v[122:123]
	v_pk_mul_f32 v[124:125], v[134:135], s[46:47]
	s_mov_b32 s51, s42
	v_pk_fma_f32 v[140:141], v[20:21], s[20:21], v[124:125] neg_lo:[1,0,0] neg_hi:[1,0,0]
	v_pk_fma_f32 v[122:123], v[20:21], s[20:21], v[124:125]
	v_pk_mul_f32 v[26:27], v[120:121], s[64:65]
	v_mov_b32_e32 v141, v123
	v_pk_add_f32 v[138:139], v[140:141], v[138:139]
	ds_write2_b64 v18, v[0:1], v[138:139] offset0:2 offset1:3
	v_pk_fma_f32 v[140:141], v[48:49], s[14:15], v[54:55] neg_lo:[1,0,0] neg_hi:[1,0,0]
	v_pk_fma_f32 v[138:139], v[48:49], s[14:15], v[54:55]
	v_pk_fma_f32 v[178:179], v[46:47], s[24:25], v[26:27] neg_lo:[1,0,0] neg_hi:[1,0,0]
	v_mov_b32_e32 v141, v139
	v_pk_add_f32 v[144:145], v[62:63], v[140:141]
	v_pk_fma_f32 v[140:141], v[46:47], s[22:23], v[50:51]
	s_mov_b32 s65, 0x3f7ee86f
	v_mov_b32_e32 v147, v141
	v_pk_add_f32 v[148:149], v[146:147], v[144:145]
	v_pk_mul_f32 v[146:147], v[118:119], s[62:63]
	s_mov_b32 s64, s44
	v_pk_fma_f32 v[150:151], v[44:45], s[26:27], v[146:147] neg_lo:[1,0,0] neg_hi:[1,0,0]
	v_pk_fma_f32 v[144:145], v[44:45], s[26:27], v[146:147]
	v_pk_mul_f32 v[4:5], v[96:97], s[42:43]
	v_mov_b32_e32 v151, v145
	v_pk_add_f32 v[152:153], v[150:151], v[148:149]
	v_pk_mul_f32 v[150:151], v[126:127], s[58:59]
	v_accvgpr_write_b32 a18, v2
	v_pk_fma_f32 v[154:155], v[42:43], s[30:31], v[150:151] neg_lo:[1,0,0] neg_hi:[1,0,0]
	v_pk_fma_f32 v[148:149], v[42:43], s[30:31], v[150:151]
	v_pk_mul_f32 v[2:3], v[120:121], s[62:63]
	v_mov_b32_e32 v155, v149
	v_pk_add_f32 v[156:157], v[154:155], v[152:153]
	v_pk_mul_f32 v[154:155], v[128:129], s[56:57]
	v_pk_fma_f32 v[216:217], v[46:47], s[26:27], v[2:3] neg_lo:[1,0,0] neg_hi:[1,0,0]
	v_pk_fma_f32 v[158:159], v[40:41], s[12:13], v[154:155] neg_lo:[1,0,0] neg_hi:[1,0,0]
	v_pk_fma_f32 v[152:153], v[40:41], s[12:13], v[154:155]
	v_pk_fma_f32 v[218:219], v[46:47], s[26:27], v[2:3]
	v_mov_b32_e32 v159, v153
	v_pk_add_f32 v[160:161], v[158:159], v[156:157]
	v_pk_mul_f32 v[158:159], v[130:131], s[46:47]
	v_mov_b32_e32 v217, v219
	v_pk_fma_f32 v[162:163], v[28:29], s[20:21], v[158:159] neg_lo:[1,0,0] neg_hi:[1,0,0]
	v_pk_fma_f32 v[156:157], v[28:29], s[20:21], v[158:159]
	v_pk_mul_f32 v[248:249], v[120:121], s[54:55]
	v_mov_b32_e32 v163, v157
	v_pk_add_f32 v[164:165], v[162:163], v[160:161]
	v_pk_mul_f32 v[162:163], v[132:133], s[66:67]
	v_pk_fma_f32 v[250:251], v[46:47], s[28:29], v[248:249] neg_lo:[1,0,0] neg_hi:[1,0,0]
	v_pk_fma_f32 v[166:167], v[24:25], s[50:51], v[162:163] neg_lo:[1,0,0] neg_hi:[1,0,0]
	v_pk_fma_f32 v[160:161], v[24:25], s[50:51], v[162:163]
	v_pk_fma_f32 v[252:253], v[46:47], s[28:29], v[248:249]
	v_mov_b32_e32 v167, v161
	v_pk_add_f32 v[168:169], v[166:167], v[164:165]
	v_pk_mul_f32 v[166:167], v[134:135], s[60:61]
	v_mov_b32_e32 v251, v253
	v_pk_fma_f32 v[170:171], v[20:21], s[36:37], v[166:167] neg_lo:[1,0,0] neg_hi:[1,0,0]
	v_pk_fma_f32 v[164:165], v[20:21], s[36:37], v[166:167]
	v_pk_fma_f32 v[2:3], v[46:47], s[26:27], v[2:3] neg_lo:[0,0,1] neg_hi:[0,0,1]
	v_mov_b32_e32 v171, v165
	v_pk_add_f32 v[0:1], v[170:171], v[168:169]
	v_pk_mul_f32 v[168:169], v[96:97], s[38:39]
	v_mov_b32_e32 v219, v3
	v_pk_fma_f32 v[172:173], v[48:49], s[16:17], v[168:169] neg_lo:[1,0,0] neg_hi:[1,0,0]
	v_pk_fma_f32 v[170:171], v[48:49], s[16:17], v[168:169]
	s_nop 0
	v_mov_b32_e32 v173, v171
	v_pk_add_f32 v[176:177], v[62:63], v[172:173]
	v_pk_fma_f32 v[172:173], v[46:47], s[24:25], v[26:27]
	s_nop 0
	v_mov_b32_e32 v179, v173
	v_pk_add_f32 v[180:181], v[178:179], v[176:177]
	v_pk_mul_f32 v[178:179], v[118:119], s[60:61]
	s_nop 0
	v_pk_fma_f32 v[182:183], v[44:45], s[36:37], v[178:179] neg_lo:[1,0,0] neg_hi:[1,0,0]
	v_pk_fma_f32 v[176:177], v[44:45], s[36:37], v[178:179]
	s_nop 0
	v_mov_b32_e32 v183, v177
	v_pk_add_f32 v[184:185], v[182:183], v[180:181]
	v_pk_mul_f32 v[182:183], v[126:127], s[56:57]
	s_mov_b32 s56, s65
	v_pk_fma_f32 v[186:187], v[42:43], s[12:13], v[182:183] neg_lo:[1,0,0] neg_hi:[1,0,0]
	v_pk_fma_f32 v[180:181], v[42:43], s[12:13], v[182:183]
	s_mov_b32 s57, s44
	v_mov_b32_e32 v187, v181
	v_pk_add_f32 v[188:189], v[186:187], v[184:185]
	v_pk_mul_f32 v[186:187], v[128:129], s[52:53]
	s_nop 0
	v_pk_fma_f32 v[190:191], v[40:41], s[22:23], v[186:187] neg_lo:[1,0,0] neg_hi:[1,0,0]
	v_pk_fma_f32 v[184:185], v[40:41], s[22:23], v[186:187]
	s_nop 0
	v_mov_b32_e32 v191, v185
	v_pk_add_f32 v[192:193], v[190:191], v[188:189]
	v_pk_mul_f32 v[190:191], v[130:131], s[64:65]
	s_nop 0
	v_pk_fma_f32 v[194:195], v[28:29], s[56:57], v[190:191] neg_lo:[1,0,0] neg_hi:[1,0,0]
	v_pk_fma_f32 v[188:189], v[28:29], s[56:57], v[190:191]
	s_nop 0
	;; [unrolled: 7-line block ×4, first 2 shown]
	v_mov_b32_e32 v213, v197
	v_pk_add_f32 v[210:211], v[212:213], v[210:211]
	ds_write2_b64 v18, v[0:1], v[210:211] offset0:4 offset1:5
	v_pk_fma_f32 v[210:211], v[48:49], s[18:19], v[4:5] neg_lo:[1,0,0] neg_hi:[1,0,0]
	v_pk_fma_f32 v[212:213], v[48:49], s[18:19], v[4:5]
	v_pk_fma_f32 v[4:5], v[48:49], s[18:19], v[4:5] neg_lo:[0,0,1] neg_hi:[0,0,1]
	v_mov_b32_e32 v211, v213
	v_pk_add_f32 v[210:211], v[62:63], v[210:211]
	v_mov_b32_e32 v213, v5
	v_pk_add_f32 v[210:211], v[216:217], v[210:211]
	v_pk_mul_f32 v[216:217], v[118:119], s[40:41]
	v_pk_add_f32 v[2:3], v[62:63], v[212:213]
	v_pk_fma_f32 v[220:221], v[44:45], s[0:1], v[216:217] neg_lo:[1,0,0] neg_hi:[1,0,0]
	v_pk_fma_f32 v[222:223], v[44:45], s[0:1], v[216:217]
	v_pk_fma_f32 v[4:5], v[44:45], s[0:1], v[216:217] neg_lo:[0,0,1] neg_hi:[0,0,1]
	v_mov_b32_e32 v221, v223
	v_pk_add_f32 v[210:211], v[220:221], v[210:211]
	v_pk_mul_f32 v[220:221], v[126:127], s[46:47]
	v_pk_add_f32 v[2:3], v[218:219], v[2:3]
	v_pk_fma_f32 v[224:225], v[42:43], s[20:21], v[220:221] neg_lo:[1,0,0] neg_hi:[1,0,0]
	v_pk_fma_f32 v[226:227], v[42:43], s[20:21], v[220:221]
	v_mov_b32_e32 v223, v5
	v_mov_b32_e32 v225, v227
	v_pk_add_f32 v[210:211], v[224:225], v[210:211]
	v_pk_mul_f32 v[224:225], v[128:129], s[64:65]
	v_pk_fma_f32 v[4:5], v[42:43], s[20:21], v[220:221] neg_lo:[0,0,1] neg_hi:[0,0,1]
	v_pk_fma_f32 v[228:229], v[40:41], s[56:57], v[224:225] neg_lo:[1,0,0] neg_hi:[1,0,0]
	v_pk_fma_f32 v[230:231], v[40:41], s[56:57], v[224:225]
	v_pk_add_f32 v[2:3], v[222:223], v[2:3]
	v_mov_b32_e32 v229, v231
	v_pk_add_f32 v[210:211], v[228:229], v[210:211]
	v_pk_mul_f32 v[228:229], v[130:131], s[48:49]
	v_mov_b32_e32 v227, v5
	v_pk_fma_f32 v[232:233], v[28:29], s[10:11], v[228:229] neg_lo:[1,0,0] neg_hi:[1,0,0]
	v_pk_fma_f32 v[234:235], v[28:29], s[10:11], v[228:229]
	v_pk_fma_f32 v[4:5], v[40:41], s[56:57], v[224:225] neg_lo:[0,0,1] neg_hi:[0,0,1]
	v_mov_b32_e32 v233, v235
	v_pk_add_f32 v[210:211], v[232:233], v[210:211]
	v_pk_mul_f32 v[232:233], v[132:133], s[52:53]
	v_pk_add_f32 v[2:3], v[226:227], v[2:3]
	v_pk_fma_f32 v[236:237], v[24:25], s[22:23], v[232:233] neg_lo:[1,0,0] neg_hi:[1,0,0]
	v_pk_fma_f32 v[238:239], v[24:25], s[22:23], v[232:233]
	v_mov_b32_e32 v231, v5
	v_mov_b32_e32 v237, v239
	v_pk_add_f32 v[210:211], v[236:237], v[210:211]
	v_pk_mul_f32 v[236:237], v[134:135], s[54:55]
	v_pk_fma_f32 v[4:5], v[28:29], s[10:11], v[228:229] neg_lo:[0,0,1] neg_hi:[0,0,1]
	v_pk_fma_f32 v[240:241], v[20:21], s[28:29], v[236:237] neg_lo:[1,0,0] neg_hi:[1,0,0]
	v_pk_fma_f32 v[242:243], v[20:21], s[28:29], v[236:237]
	v_pk_add_f32 v[2:3], v[230:231], v[2:3]
	v_mov_b32_e32 v241, v243
	v_pk_add_f32 v[210:211], v[240:241], v[210:211]
	v_pk_mul_f32 v[240:241], v[96:97], s[46:47]
	v_mov_b32_e32 v235, v5
	v_pk_fma_f32 v[244:245], v[48:49], s[20:21], v[240:241] neg_lo:[1,0,0] neg_hi:[1,0,0]
	v_pk_fma_f32 v[246:247], v[48:49], s[20:21], v[240:241]
	v_pk_fma_f32 v[4:5], v[24:25], s[22:23], v[232:233] neg_lo:[0,0,1] neg_hi:[0,0,1]
	v_mov_b32_e32 v245, v247
	v_pk_add_f32 v[244:245], v[62:63], v[244:245]
	v_pk_add_f32 v[2:3], v[234:235], v[2:3]
	;; [unrolled: 1-line block ×3, first 2 shown]
	v_pk_mul_f32 v[250:251], v[118:119], s[44:45]
	v_pk_mul_f32 v[118:119], v[118:119], s[46:47]
	v_pk_fma_f32 v[254:255], v[44:45], s[14:15], v[250:251] neg_lo:[1,0,0] neg_hi:[1,0,0]
	v_pk_fma_f32 v[0:1], v[44:45], s[14:15], v[250:251]
	v_pk_fma_f32 v[6:7], v[44:45], s[20:21], v[118:119]
	v_mov_b32_e32 v255, v1
	v_pk_add_f32 v[244:245], v[254:255], v[244:245]
	v_pk_mul_f32 v[254:255], v[126:127], s[66:67]
	v_pk_mul_f32 v[126:127], v[126:127], s[60:61]
	v_pk_fma_f32 v[206:207], v[42:43], s[50:51], v[254:255] neg_lo:[1,0,0] neg_hi:[1,0,0]
	v_pk_fma_f32 v[204:205], v[42:43], s[50:51], v[254:255]
	v_pk_fma_f32 v[8:9], v[42:43], s[36:37], v[126:127]
	v_mov_b32_e32 v207, v205
	v_pk_add_f32 v[206:207], v[206:207], v[244:245]
	;; [unrolled: 7-line block ×6, first 2 shown]
	ds_write2_b64 v18, v[210:211], v[94:95] offset0:6 offset1:7
	v_pk_mul_f32 v[94:95], v[96:97], s[52:53]
	v_pk_mul_f32 v[96:97], v[120:121], s[58:59]
	v_pk_fma_f32 v[120:121], v[48:49], s[22:23], v[94:95] neg_lo:[1,0,0] neg_hi:[1,0,0]
	v_pk_fma_f32 v[136:137], v[48:49], s[22:23], v[94:95]
	v_pk_fma_f32 v[210:211], v[46:47], s[30:31], v[96:97] neg_lo:[1,0,0] neg_hi:[1,0,0]
	v_mov_b32_e32 v121, v137
	v_pk_fma_f32 v[38:39], v[46:47], s[30:31], v[96:97]
	v_pk_add_f32 v[120:121], v[62:63], v[120:121]
	v_mov_b32_e32 v211, v39
	v_pk_add_f32 v[120:121], v[210:211], v[120:121]
	v_pk_fma_f32 v[210:211], v[44:45], s[20:21], v[118:119] neg_lo:[1,0,0] neg_hi:[1,0,0]
	v_pk_fma_f32 v[94:95], v[48:49], s[22:23], v[94:95] neg_lo:[0,0,1] neg_hi:[0,0,1]
	v_mov_b32_e32 v211, v7
	v_mov_b32_e32 v137, v95
	v_pk_fma_f32 v[94:95], v[46:47], s[30:31], v[96:97] neg_lo:[0,0,1] neg_hi:[0,0,1]
	v_pk_add_f32 v[120:121], v[210:211], v[120:121]
	v_pk_fma_f32 v[210:211], v[42:43], s[36:37], v[126:127] neg_lo:[1,0,0] neg_hi:[1,0,0]
	v_mov_b32_e32 v39, v95
	v_pk_add_f32 v[94:95], v[62:63], v[136:137]
	v_mov_b32_e32 v211, v9
	v_pk_add_f32 v[38:39], v[38:39], v[94:95]
	v_pk_fma_f32 v[94:95], v[44:45], s[20:21], v[118:119] neg_lo:[0,0,1] neg_hi:[0,0,1]
	v_pk_add_f32 v[120:121], v[210:211], v[120:121]
	v_pk_fma_f32 v[210:211], v[40:41], s[18:19], v[128:129] neg_lo:[1,0,0] neg_hi:[1,0,0]
	v_mov_b32_e32 v7, v95
	v_mov_b32_e32 v211, v11
	v_pk_add_f32 v[6:7], v[6:7], v[38:39]
	v_pk_fma_f32 v[38:39], v[42:43], s[36:37], v[126:127] neg_lo:[0,0,1] neg_hi:[0,0,1]
	v_pk_add_f32 v[120:121], v[210:211], v[120:121]
	v_pk_fma_f32 v[210:211], v[28:29], s[28:29], v[130:131] neg_lo:[1,0,0] neg_hi:[1,0,0]
	v_mov_b32_e32 v9, v39
	v_mov_b32_e32 v211, v13
	v_pk_add_f32 v[6:7], v[8:9], v[6:7]
	v_pk_fma_f32 v[8:9], v[40:41], s[18:19], v[128:129] neg_lo:[0,0,1] neg_hi:[0,0,1]
	v_pk_add_f32 v[120:121], v[210:211], v[120:121]
	v_pk_fma_f32 v[210:211], v[24:25], s[16:17], v[132:133] neg_lo:[1,0,0] neg_hi:[1,0,0]
	v_mov_b32_e32 v11, v9
	v_pk_fma_f32 v[8:9], v[28:29], s[28:29], v[130:131] neg_lo:[0,0,1] neg_hi:[0,0,1]
	v_mov_b32_e32 v211, v15
	v_pk_add_f32 v[6:7], v[10:11], v[6:7]
	v_mov_b32_e32 v13, v9
	v_pk_fma_f32 v[8:9], v[24:25], s[16:17], v[132:133] neg_lo:[0,0,1] neg_hi:[0,0,1]
	v_pk_add_f32 v[120:121], v[210:211], v[120:121]
	v_pk_fma_f32 v[210:211], v[20:21], s[56:57], v[134:135] neg_lo:[1,0,0] neg_hi:[1,0,0]
	v_pk_add_f32 v[6:7], v[12:13], v[6:7]
	v_mov_b32_e32 v15, v9
	v_pk_fma_f32 v[8:9], v[20:21], s[56:57], v[134:135] neg_lo:[0,0,1] neg_hi:[0,0,1]
	v_mov_b32_e32 v211, v17
	v_pk_add_f32 v[6:7], v[14:15], v[6:7]
	v_mov_b32_e32 v17, v9
	v_pk_add_f32 v[120:121], v[210:211], v[120:121]
	v_pk_add_f32 v[6:7], v[16:17], v[6:7]
	ds_write2_b64 v18, v[120:121], v[6:7] offset0:8 offset1:9
	v_pk_fma_f32 v[6:7], v[48:49], s[20:21], v[240:241] neg_lo:[0,0,1] neg_hi:[0,0,1]
	v_pk_fma_f32 v[8:9], v[44:45], s[14:15], v[250:251] neg_lo:[0,0,1] neg_hi:[0,0,1]
	v_mov_b32_e32 v247, v7
	v_pk_fma_f32 v[6:7], v[46:47], s[28:29], v[248:249] neg_lo:[0,0,1] neg_hi:[0,0,1]
	v_mov_b32_e32 v1, v9
	v_mov_b32_e32 v253, v7
	v_pk_add_f32 v[6:7], v[62:63], v[246:247]
	v_mov_b32_e32 v239, v5
	v_pk_add_f32 v[6:7], v[252:253], v[6:7]
	v_pk_fma_f32 v[4:5], v[20:21], s[28:29], v[236:237] neg_lo:[0,0,1] neg_hi:[0,0,1]
	v_pk_add_f32 v[0:1], v[0:1], v[6:7]
	v_pk_fma_f32 v[6:7], v[42:43], s[50:51], v[254:255] neg_lo:[0,0,1] neg_hi:[0,0,1]
	v_pk_add_f32 v[2:3], v[238:239], v[2:3]
	v_mov_b32_e32 v205, v7
	v_pk_fma_f32 v[6:7], v[40:41], s[0:1], v[244:245] neg_lo:[0,0,1] neg_hi:[0,0,1]
	v_pk_add_f32 v[0:1], v[204:205], v[0:1]
	v_mov_b32_e32 v203, v7
	;; [unrolled: 3-line block ×5, first 2 shown]
	v_mov_b32_e32 v243, v5
	v_pk_add_f32 v[0:1], v[208:209], v[0:1]
	v_pk_add_f32 v[2:3], v[242:243], v[2:3]
	ds_write2_b64 v18, v[0:1], v[2:3] offset0:10 offset1:11
	v_pk_fma_f32 v[2:3], v[44:45], s[36:37], v[178:179] neg_lo:[0,0,1] neg_hi:[0,0,1]
	v_pk_fma_f32 v[0:1], v[48:49], s[16:17], v[168:169] neg_lo:[0,0,1] neg_hi:[0,0,1]
	v_mov_b32_e32 v177, v3
	v_pk_fma_f32 v[2:3], v[42:43], s[12:13], v[182:183] neg_lo:[0,0,1] neg_hi:[0,0,1]
	v_mov_b32_e32 v171, v1
	v_mov_b32_e32 v181, v3
	v_pk_fma_f32 v[2:3], v[40:41], s[22:23], v[186:187] neg_lo:[0,0,1] neg_hi:[0,0,1]
	v_pk_fma_f32 v[0:1], v[46:47], s[24:25], v[26:27] neg_lo:[0,0,1] neg_hi:[0,0,1]
	v_mov_b32_e32 v185, v3
	v_pk_fma_f32 v[2:3], v[28:29], s[56:57], v[190:191] neg_lo:[0,0,1] neg_hi:[0,0,1]
	v_mov_b32_e32 v173, v1
	v_mov_b32_e32 v189, v3
	v_pk_fma_f32 v[2:3], v[24:25], s[0:1], v[194:195] neg_lo:[0,0,1] neg_hi:[0,0,1]
	v_pk_add_f32 v[0:1], v[62:63], v[170:171]
	v_mov_b32_e32 v193, v3
	v_pk_fma_f32 v[2:3], v[20:21], s[18:19], v[198:199] neg_lo:[0,0,1] neg_hi:[0,0,1]
	v_pk_fma_f32 v[4:5], v[44:45], s[26:27], v[146:147] neg_lo:[0,0,1] neg_hi:[0,0,1]
	v_mov_b32_e32 v197, v3
	v_pk_fma_f32 v[2:3], v[48:49], s[14:15], v[54:55] neg_lo:[0,0,1] neg_hi:[0,0,1]
	v_pk_add_f32 v[0:1], v[172:173], v[0:1]
	v_mov_b32_e32 v139, v3
	v_pk_fma_f32 v[2:3], v[46:47], s[22:23], v[50:51] neg_lo:[0,0,1] neg_hi:[0,0,1]
	v_mov_b32_e32 v145, v5
	v_mov_b32_e32 v141, v3
	v_pk_add_f32 v[2:3], v[62:63], v[138:139]
	v_pk_fma_f32 v[4:5], v[42:43], s[30:31], v[150:151] neg_lo:[0,0,1] neg_hi:[0,0,1]
	v_pk_add_f32 v[2:3], v[140:141], v[2:3]
	v_pk_add_f32 v[0:1], v[176:177], v[0:1]
	;; [unrolled: 1-line block ×3, first 2 shown]
	v_mov_b32_e32 v149, v5
	v_pk_fma_f32 v[4:5], v[40:41], s[12:13], v[154:155] neg_lo:[0,0,1] neg_hi:[0,0,1]
	v_pk_add_f32 v[0:1], v[180:181], v[0:1]
	v_pk_add_f32 v[2:3], v[148:149], v[2:3]
	v_mov_b32_e32 v153, v5
	v_pk_fma_f32 v[4:5], v[28:29], s[20:21], v[158:159] neg_lo:[0,0,1] neg_hi:[0,0,1]
	v_pk_add_f32 v[0:1], v[184:185], v[0:1]
	v_pk_add_f32 v[2:3], v[152:153], v[2:3]
	;; [unrolled: 4-line block ×4, first 2 shown]
	v_mov_b32_e32 v165, v5
	v_pk_add_f32 v[0:1], v[196:197], v[0:1]
	v_pk_add_f32 v[2:3], v[164:165], v[2:3]
	ds_write2_b64 v18, v[0:1], v[2:3] offset0:12 offset1:13
	v_pk_fma_f32 v[2:3], v[44:45], s[34:35], v[100:101] neg_lo:[0,0,1] neg_hi:[0,0,1]
	v_pk_fma_f32 v[0:1], v[48:49], s[12:13], v[88:89] neg_lo:[0,0,1] neg_hi:[0,0,1]
	v_mov_b32_e32 v99, v3
	v_pk_fma_f32 v[2:3], v[42:43], s[26:27], v[104:105] neg_lo:[0,0,1] neg_hi:[0,0,1]
	v_mov_b32_e32 v91, v1
	v_mov_b32_e32 v103, v3
	v_pk_fma_f32 v[2:3], v[40:41], s[36:37], v[108:109] neg_lo:[0,0,1] neg_hi:[0,0,1]
	v_pk_fma_f32 v[0:1], v[46:47], s[18:19], v[58:59] neg_lo:[0,0,1] neg_hi:[0,0,1]
	v_mov_b32_e32 v107, v3
	v_pk_fma_f32 v[2:3], v[28:29], s[0:1], v[112:113] neg_lo:[0,0,1] neg_hi:[0,0,1]
	v_mov_b32_e32 v93, v1
	v_mov_b32_e32 v111, v3
	v_pk_fma_f32 v[2:3], v[24:25], s[14:15], v[116:117] neg_lo:[0,0,1] neg_hi:[0,0,1]
	v_pk_add_f32 v[0:1], v[62:63], v[90:91]
	v_mov_b32_e32 v115, v3
	v_pk_fma_f32 v[2:3], v[20:21], s[20:21], v[124:125] neg_lo:[0,0,1] neg_hi:[0,0,1]
	v_pk_fma_f32 v[4:5], v[44:45], s[18:19], v[66:67] neg_lo:[0,0,1] neg_hi:[0,0,1]
	v_mov_b32_e32 v123, v3
	v_accvgpr_read_b32 v2, a28
	v_accvgpr_read_b32 v3, a29
	v_pk_fma_f32 v[2:3], v[48:49], s[10:11], v[2:3] neg_lo:[0,0,1] neg_hi:[0,0,1]
	v_pk_add_f32 v[0:1], v[92:93], v[0:1]
	v_mov_b32_e32 v57, v3
	v_accvgpr_read_b32 v2, a30
	v_accvgpr_read_b32 v3, a31
	v_pk_fma_f32 v[2:3], v[46:47], s[14:15], v[2:3] neg_lo:[0,0,1] neg_hi:[0,0,1]
	v_mov_b32_e32 v65, v5
	v_mov_b32_e32 v61, v3
	v_pk_add_f32 v[2:3], v[62:63], v[56:57]
	v_pk_fma_f32 v[4:5], v[42:43], s[22:23], v[70:71] neg_lo:[0,0,1] neg_hi:[0,0,1]
	v_pk_add_f32 v[2:3], v[60:61], v[2:3]
	v_pk_add_f32 v[0:1], v[98:99], v[0:1]
	;; [unrolled: 1-line block ×3, first 2 shown]
	v_mov_b32_e32 v69, v5
	v_pk_fma_f32 v[4:5], v[40:41], s[24:25], v[74:75] neg_lo:[0,0,1] neg_hi:[0,0,1]
	v_pk_add_f32 v[0:1], v[102:103], v[0:1]
	v_pk_add_f32 v[2:3], v[68:69], v[2:3]
	v_mov_b32_e32 v73, v5
	v_pk_fma_f32 v[4:5], v[28:29], s[26:27], v[78:79] neg_lo:[0,0,1] neg_hi:[0,0,1]
	v_pk_add_f32 v[0:1], v[106:107], v[0:1]
	v_pk_add_f32 v[2:3], v[72:73], v[2:3]
	;; [unrolled: 4-line block ×4, first 2 shown]
	v_mov_b32_e32 v85, v5
	v_pk_add_f32 v[0:1], v[122:123], v[0:1]
	v_pk_add_f32 v[2:3], v[84:85], v[2:3]
	ds_write2_b64 v18, v[0:1], v[2:3] offset0:14 offset1:15
	v_accvgpr_read_b32 v0, a4
	v_accvgpr_read_b32 v1, a5
	;; [unrolled: 1-line block ×3, first 2 shown]
	v_pk_fma_f32 v[0:1], v[48:49], s[0:1], v[0:1] neg_lo:[0,0,1] neg_hi:[0,0,1]
	v_accvgpr_read_b32 v3, a9
	v_accvgpr_read_b32 v0, a2
	v_pk_fma_f32 v[2:3], v[46:47], s[10:11], v[2:3] neg_lo:[0,0,1] neg_hi:[0,0,1]
	v_pk_add_f32 v[0:1], v[62:63], v[0:1]
	v_accvgpr_read_b32 v2, a6
	v_pk_add_f32 v[0:1], v[2:3], v[0:1]
	v_accvgpr_read_b32 v2, a12
	v_accvgpr_read_b32 v3, a13
	v_pk_fma_f32 v[2:3], v[44:45], s[12:13], v[2:3] neg_lo:[0,0,1] neg_hi:[0,0,1]
	v_mov_b32_e32 v75, v23
	v_accvgpr_read_b32 v2, a10
	v_pk_add_f32 v[0:1], v[2:3], v[0:1]
	v_accvgpr_read_b32 v2, a16
	v_accvgpr_read_b32 v3, a17
	v_pk_fma_f32 v[2:3], v[42:43], s[14:15], v[2:3] neg_lo:[0,0,1] neg_hi:[0,0,1]
	v_mov_b32_e32 v76, v31
	;; [unrolled: 6-line block ×3, first 2 shown]
	v_accvgpr_read_b32 v2, a18
	v_pk_add_f32 v[0:1], v[2:3], v[0:1]
	v_accvgpr_read_b32 v2, a22
	v_accvgpr_read_b32 v3, a23
	v_pk_fma_f32 v[2:3], v[28:29], s[18:19], v[2:3] neg_lo:[0,0,1] neg_hi:[0,0,1]
	v_accvgpr_read_b32 v57, a0
	v_mov_b32_e32 v23, v3
	v_accvgpr_read_b32 v2, a24
	v_accvgpr_read_b32 v3, a25
	v_pk_fma_f32 v[2:3], v[24:25], s[20:21], v[2:3] neg_lo:[0,0,1] neg_hi:[0,0,1]
	v_pk_add_f32 v[0:1], v[22:23], v[0:1]
	v_mov_b32_e32 v31, v3
	v_accvgpr_read_b32 v2, a26
	v_accvgpr_read_b32 v3, a27
	v_pk_fma_f32 v[2:3], v[20:21], s[22:23], v[2:3] neg_lo:[0,0,1] neg_hi:[0,0,1]
	v_pk_add_f32 v[0:1], v[30:31], v[0:1]
	v_mov_b32_e32 v53, v3
	v_accvgpr_read_b32 v68, a1
	v_mov_b32_e32 v74, v19
	v_pk_add_f32 v[0:1], v[52:53], v[0:1]
	ds_write_b64 v18, v[0:1] offset:128
.LBB0_14:
	s_or_b64 exec, exec, s[4:5]
	v_add_u32_e32 v0, 0xee, v36
	s_mov_b32 s1, 0xf0f1
	v_mul_u32_u24_sdwa v3, v0, s1 dst_sel:DWORD dst_unused:UNUSED_PAD src0_sel:WORD_0 src1_sel:DWORD
	v_lshrrev_b32_e32 v14, 20, v3
	v_mul_lo_u16_e32 v3, 17, v14
	s_movk_i32 s0, 0xf1
	v_add_u16_e32 v2, 0xcc, v36
	v_sub_u16_e32 v0, v0, v3
	v_lshlrev_b32_e32 v15, 3, v0
	v_mul_lo_u16_sdwa v0, v2, s0 dst_sel:DWORD dst_unused:UNUSED_PAD src0_sel:BYTE_0 src1_sel:DWORD
	v_lshrrev_b16_e32 v12, 12, v0
	v_mul_lo_u16_e32 v0, 17, v12
	v_sub_u16_e32 v0, v2, v0
	v_add_u16_e32 v2, 0xaa, v36
	v_mul_lo_u16_sdwa v3, v2, s0 dst_sel:DWORD dst_unused:UNUSED_PAD src0_sel:BYTE_0 src1_sel:DWORD
	v_lshrrev_b16_e32 v13, 12, v3
	s_load_dwordx2 s[2:3], s[2:3], 0x0
	s_waitcnt lgkmcnt(0)
	s_barrier
	v_mov_b32_e32 v1, 3
	global_load_dwordx2 v[10:11], v15, s[8:9]
	v_mul_lo_u16_e32 v3, 17, v13
	v_lshlrev_b32_sdwa v16, v1, v0 dst_sel:DWORD dst_unused:UNUSED_PAD src0_sel:DWORD src1_sel:BYTE_0
	global_load_dwordx2 v[18:19], v16, s[8:9]
	v_add_u16_e32 v0, 0x88, v36
	v_sub_u16_e32 v2, v2, v3
	v_lshlrev_b32_sdwa v17, v1, v2 dst_sel:DWORD dst_unused:UNUSED_PAD src0_sel:DWORD src1_sel:BYTE_0
	global_load_dwordx2 v[20:21], v17, s[8:9]
	v_mul_lo_u16_sdwa v2, v0, s0 dst_sel:DWORD dst_unused:UNUSED_PAD src0_sel:BYTE_0 src1_sel:DWORD
	v_lshrrev_b16_e32 v38, 12, v2
	v_mul_lo_u16_e32 v2, 17, v38
	v_sub_u16_e32 v0, v0, v2
	v_lshlrev_b32_sdwa v39, v1, v0 dst_sel:DWORD dst_unused:UNUSED_PAD src0_sel:DWORD src1_sel:BYTE_0
	global_load_dwordx2 v[22:23], v39, s[8:9]
	v_add_u16_e32 v0, 0x66, v36
	v_mul_lo_u16_sdwa v2, v0, s0 dst_sel:DWORD dst_unused:UNUSED_PAD src0_sel:BYTE_0 src1_sel:DWORD
	v_lshrrev_b16_e32 v40, 12, v2
	v_mul_lo_u16_e32 v2, 17, v40
	v_sub_u16_e32 v0, v0, v2
	v_add_u16_e32 v2, 0x44, v36
	v_mul_lo_u16_sdwa v3, v2, s0 dst_sel:DWORD dst_unused:UNUSED_PAD src0_sel:BYTE_0 src1_sel:DWORD
	v_lshrrev_b16_e32 v42, 12, v3
	v_mul_lo_u16_e32 v3, 17, v42
	v_lshlrev_b32_sdwa v41, v1, v0 dst_sel:DWORD dst_unused:UNUSED_PAD src0_sel:DWORD src1_sel:BYTE_0
	v_add_u16_e32 v0, 34, v36
	v_sub_u16_e32 v2, v2, v3
	v_lshlrev_b32_sdwa v43, v1, v2 dst_sel:DWORD dst_unused:UNUSED_PAD src0_sel:DWORD src1_sel:BYTE_0
	v_mul_lo_u16_sdwa v2, v0, s0 dst_sel:DWORD dst_unused:UNUSED_PAD src0_sel:BYTE_0 src1_sel:DWORD
	v_lshrrev_b16_e32 v44, 12, v2
	global_load_dwordx2 v[24:25], v41, s[8:9]
	global_load_dwordx2 v[26:27], v43, s[8:9]
	v_mul_lo_u16_e32 v2, 17, v44
	v_sub_u16_e32 v0, v0, v2
	v_lshlrev_b32_sdwa v45, v1, v0 dst_sel:DWORD dst_unused:UNUSED_PAD src0_sel:DWORD src1_sel:BYTE_0
	global_load_dwordx2 v[28:29], v45, s[8:9]
	v_subrev_u32_e32 v0, 17, v36
	v_cmp_gt_u32_e64 s[0:1], 17, v36
	v_mov_b32_e32 v1, 0
	s_movk_i32 s4, 0x110
	v_cndmask_b32_e64 v0, v0, v36, s[0:1]
	v_lshl_add_u64 v[2:3], v[0:1], 3, s[8:9]
	global_load_dwordx2 v[30:31], v[2:3], off
	v_mad_u32_u24 v13, v13, s4, 0
	ds_read2_b64 v[2:5], v57 offset0:110 offset1:144
	ds_read2_b64 v[6:9], v77 offset0:50 offset1:84
	v_add3_u32 v54, v13, v17, v68
	v_mad_u32_u24 v17, v12, s4, 0
	ds_read_b64 v[12:13], v37 offset:4080
	v_mad_u32_u24 v38, v38, s4, 0
	v_mad_u32_u24 v14, v14, s4, 0
	v_add3_u32 v53, v38, v39, v68
	ds_read_b64 v[38:39], v75
	v_add3_u32 v56, v14, v15, v68
	v_add3_u32 v55, v17, v16, v68
	v_mad_u32_u24 v40, v40, s4, 0
	v_add3_u32 v52, v40, v41, v68
	v_mad_u32_u24 v42, v42, s4, 0
	v_mad_u32_u24 v44, v44, s4, 0
	v_add3_u32 v51, v42, v43, v68
	v_add3_u32 v50, v44, v45, v68
	v_mov_b32_e32 v46, 0x110
	v_cmp_lt_u32_e64 s[0:1], 16, v36
	v_lshlrev_b32_e32 v0, 3, v0
	s_mov_b32 s4, 0x3f6c835e
	v_cndmask_b32_e64 v46, 0, v46, s[0:1]
	v_add_u32_e32 v46, 0, v46
	v_add3_u32 v0, v46, v0, v68
	s_mov_b32 s0, 0x3f3504f3
	s_mov_b32 s10, 0x3ec3ef15
	s_waitcnt vmcnt(7) lgkmcnt(1)
	v_pk_mul_f32 v[14:15], v[12:13], v[10:11] op_sel:[0,1]
	s_nop 0
	v_pk_fma_f32 v[16:17], v[12:13], v[10:11], v[14:15] op_sel:[0,0,1] op_sel_hi:[1,1,0] neg_lo:[0,0,1] neg_hi:[0,0,1]
	v_pk_fma_f32 v[14:15], v[12:13], v[10:11], v[14:15] op_sel:[0,0,1] op_sel_hi:[1,0,0]
	ds_read2_b64 v[10:13], v77 offset0:186 offset1:220
	v_mov_b32_e32 v17, v15
	v_pk_add_f32 v[40:41], v[2:3], v[16:17] neg_lo:[0,1] neg_hi:[0,1]
	ds_read2_b64 v[14:17], v37 offset0:170 offset1:204
	v_pk_fma_f32 v[2:3], v[2:3], 2.0, v[40:41] op_sel_hi:[1,0,1] neg_lo:[0,0,1] neg_hi:[0,0,1]
	s_waitcnt vmcnt(6) lgkmcnt(1)
	v_pk_mul_f32 v[42:43], v[12:13], v[18:19] op_sel:[0,1]
	s_nop 0
	v_pk_fma_f32 v[44:45], v[12:13], v[18:19], v[42:43] op_sel:[0,0,1] op_sel_hi:[1,1,0] neg_lo:[0,0,1] neg_hi:[0,0,1]
	v_pk_fma_f32 v[12:13], v[12:13], v[18:19], v[42:43] op_sel:[0,0,1] op_sel_hi:[1,0,0]
	s_nop 0
	v_mov_b32_e32 v45, v13
	s_waitcnt lgkmcnt(0)
	v_pk_add_f32 v[18:19], v[16:17], v[44:45] neg_lo:[0,1] neg_hi:[0,1]
	s_waitcnt vmcnt(5)
	v_pk_mul_f32 v[12:13], v[10:11], v[20:21] op_sel:[0,1]
	v_pk_fma_f32 v[42:43], v[16:17], 2.0, v[18:19] op_sel_hi:[1,0,1] neg_lo:[0,0,1] neg_hi:[0,0,1]
	v_pk_fma_f32 v[16:17], v[10:11], v[20:21], v[12:13] op_sel:[0,0,1] op_sel_hi:[1,1,0] neg_lo:[0,0,1] neg_hi:[0,0,1]
	v_pk_fma_f32 v[20:21], v[10:11], v[20:21], v[12:13] op_sel:[0,0,1] op_sel_hi:[1,0,0]
	ds_read2_b64 v[10:13], v77 offset0:118 offset1:152
	v_mov_b32_e32 v17, v21
	v_pk_add_f32 v[20:21], v[14:15], v[16:17] neg_lo:[0,1] neg_hi:[0,1]
	s_waitcnt vmcnt(4) lgkmcnt(0)
	v_pk_mul_f32 v[46:47], v[12:13], v[22:23] op_sel:[0,1]
	v_pk_fma_f32 v[44:45], v[14:15], 2.0, v[20:21] op_sel_hi:[1,0,1] neg_lo:[0,0,1] neg_hi:[0,0,1]
	ds_read2_b64 v[14:17], v37 offset0:102 offset1:136
	v_pk_fma_f32 v[48:49], v[12:13], v[22:23], v[46:47] op_sel:[0,0,1] op_sel_hi:[1,1,0] neg_lo:[0,0,1] neg_hi:[0,0,1]
	v_pk_fma_f32 v[12:13], v[12:13], v[22:23], v[46:47] op_sel:[0,0,1] op_sel_hi:[1,0,0]
	s_nop 0
	v_mov_b32_e32 v49, v13
	s_waitcnt vmcnt(3)
	v_pk_mul_f32 v[12:13], v[10:11], v[24:25] op_sel:[0,1]
	s_waitcnt lgkmcnt(0)
	v_pk_add_f32 v[22:23], v[16:17], v[48:49] neg_lo:[0,1] neg_hi:[0,1]
	v_pk_fma_f32 v[46:47], v[10:11], v[24:25], v[12:13] op_sel:[0,0,1] op_sel_hi:[1,1,0] neg_lo:[0,0,1] neg_hi:[0,0,1]
	v_pk_fma_f32 v[10:11], v[10:11], v[24:25], v[12:13] op_sel:[0,0,1] op_sel_hi:[1,0,0]
	v_pk_fma_f32 v[16:17], v[16:17], 2.0, v[22:23] op_sel_hi:[1,0,1] neg_lo:[0,0,1] neg_hi:[0,0,1]
	v_mov_b32_e32 v47, v11
	v_pk_add_f32 v[24:25], v[14:15], v[46:47] neg_lo:[0,1] neg_hi:[0,1]
	s_waitcnt vmcnt(2)
	v_pk_mul_f32 v[46:47], v[26:27], v[8:9] op_sel:[0,1]
	ds_read2_b64 v[10:13], v37 offset0:34 offset1:68
	v_pk_fma_f32 v[48:49], v[26:27], v[8:9], v[46:47] op_sel:[0,0,1] op_sel_hi:[1,1,0] neg_lo:[0,0,1] neg_hi:[0,0,1]
	v_pk_fma_f32 v[8:9], v[26:27], v[8:9], v[46:47] op_sel:[0,0,1] op_sel_hi:[1,0,0]
	s_waitcnt vmcnt(1)
	v_pk_mul_f32 v[26:27], v[28:29], v[6:7] op_sel:[0,1]
	v_mov_b32_e32 v49, v9
	v_pk_fma_f32 v[46:47], v[28:29], v[6:7], v[26:27] op_sel:[0,0,1] op_sel_hi:[1,1,0] neg_lo:[0,0,1] neg_hi:[0,0,1]
	v_pk_fma_f32 v[6:7], v[28:29], v[6:7], v[26:27] op_sel:[0,0,1] op_sel_hi:[1,0,0]
	s_waitcnt vmcnt(0)
	v_pk_mul_f32 v[26:27], v[30:31], v[4:5] op_sel:[0,1]
	v_mov_b32_e32 v47, v7
	v_pk_fma_f32 v[28:29], v[30:31], v[4:5], v[26:27] op_sel:[0,0,1] op_sel_hi:[1,1,0] neg_lo:[0,0,1] neg_hi:[0,0,1]
	v_pk_fma_f32 v[4:5], v[30:31], v[4:5], v[26:27] op_sel:[0,0,1] op_sel_hi:[1,0,0]
	s_waitcnt lgkmcnt(0)
	v_pk_add_f32 v[8:9], v[12:13], v[48:49] neg_lo:[0,1] neg_hi:[0,1]
	v_mov_b32_e32 v29, v5
	v_pk_add_f32 v[4:5], v[38:39], v[28:29] neg_lo:[0,1] neg_hi:[0,1]
	v_pk_add_f32 v[6:7], v[10:11], v[46:47] neg_lo:[0,1] neg_hi:[0,1]
	v_pk_fma_f32 v[26:27], v[38:39], 2.0, v[4:5] op_sel_hi:[1,0,1] neg_lo:[0,0,1] neg_hi:[0,0,1]
	v_pk_fma_f32 v[14:15], v[14:15], 2.0, v[24:25] op_sel_hi:[1,0,1] neg_lo:[0,0,1] neg_hi:[0,0,1]
	v_pk_fma_f32 v[12:13], v[12:13], 2.0, v[8:9] op_sel_hi:[1,0,1] neg_lo:[0,0,1] neg_hi:[0,0,1]
	v_pk_fma_f32 v[10:11], v[10:11], 2.0, v[6:7] op_sel_hi:[1,0,1] neg_lo:[0,0,1] neg_hi:[0,0,1]
	s_barrier
	ds_write2_b64 v0, v[26:27], v[4:5] offset1:17
	ds_write2_b64 v50, v[10:11], v[6:7] offset1:17
	;; [unrolled: 1-line block ×8, first 2 shown]
	v_mul_u32_u24_e32 v0, 15, v36
	v_lshlrev_b32_e32 v0, 3, v0
	s_waitcnt lgkmcnt(0)
	s_barrier
	global_load_dwordx4 v[2:5], v0, s[8:9] offset:136
	global_load_dwordx4 v[6:9], v0, s[8:9] offset:152
	;; [unrolled: 1-line block ×7, first 2 shown]
	global_load_dwordx2 v[30:31], v0, s[8:9] offset:248
	ds_read2_b64 v[38:41], v37 offset0:34 offset1:68
	ds_read2_b64 v[42:45], v37 offset0:102 offset1:136
	ds_read2_b32 v[66:67], v57 offset0:84 offset1:85
	ds_read_b64 v[68:69], v75
	ds_read2_b64 v[46:49], v37 offset0:204 offset1:238
	ds_read2_b64 v[50:53], v77 offset0:16 offset1:50
	;; [unrolled: 1-line block ×5, first 2 shown]
	s_waitcnt lgkmcnt(6)
	v_mov_b32_e32 v0, v67
	s_waitcnt lgkmcnt(0)
	s_barrier
	s_waitcnt vmcnt(7)
	v_pk_mul_f32 v[70:71], v[2:3], v[38:39] op_sel:[0,1]
	s_nop 0
	v_pk_fma_f32 v[72:73], v[2:3], v[38:39], v[70:71] op_sel:[0,0,1] op_sel_hi:[1,1,0] neg_lo:[0,0,1] neg_hi:[0,0,1]
	v_pk_fma_f32 v[2:3], v[2:3], v[38:39], v[70:71] op_sel:[0,0,1] op_sel_hi:[1,0,0]
	s_nop 0
	v_mov_b32_e32 v73, v3
	v_pk_mul_f32 v[2:3], v[4:5], v[40:41] op_sel:[0,1]
	s_nop 0
	v_pk_fma_f32 v[38:39], v[4:5], v[40:41], v[2:3] op_sel:[0,0,1] op_sel_hi:[1,1,0] neg_lo:[0,0,1] neg_hi:[0,0,1]
	v_pk_fma_f32 v[2:3], v[4:5], v[40:41], v[2:3] op_sel:[0,0,1] op_sel_hi:[1,0,0]
	s_nop 0
	v_mov_b32_e32 v39, v3
	s_waitcnt vmcnt(6)
	v_pk_mul_f32 v[2:3], v[6:7], v[42:43] op_sel:[0,1]
	s_nop 0
	v_pk_fma_f32 v[4:5], v[6:7], v[42:43], v[2:3] op_sel:[0,0,1] op_sel_hi:[1,1,0] neg_lo:[0,0,1] neg_hi:[0,0,1]
	v_pk_fma_f32 v[2:3], v[6:7], v[42:43], v[2:3] op_sel:[0,0,1] op_sel_hi:[1,0,0]
	s_nop 0
	v_mov_b32_e32 v5, v3
	v_pk_mul_f32 v[2:3], v[8:9], v[44:45] op_sel:[0,1]
	s_nop 0
	v_pk_fma_f32 v[6:7], v[8:9], v[44:45], v[2:3] op_sel:[0,0,1] op_sel_hi:[1,1,0] neg_lo:[0,0,1] neg_hi:[0,0,1]
	v_pk_fma_f32 v[2:3], v[8:9], v[44:45], v[2:3] op_sel:[0,0,1] op_sel_hi:[1,0,0]
	s_nop 0
	v_mov_b32_e32 v7, v3
	s_waitcnt vmcnt(5)
	v_pk_mul_f32 v[2:3], v[0:1], v[10:11] op_sel_hi:[0,1]
	v_pk_fma_f32 v[8:9], v[10:11], v[66:67], v[2:3] op_sel:[0,0,1] op_sel_hi:[1,1,0] neg_lo:[0,0,1] neg_hi:[0,0,1]
	v_pk_fma_f32 v[2:3], v[10:11], v[66:67], v[2:3] op_sel:[0,0,1] op_sel_hi:[1,0,0]
	v_mov_b32_e32 v0, v13
	v_mov_b32_e32 v9, v3
	v_pk_mul_f32 v[2:3], v[46:47], v[0:1] op_sel_hi:[1,0]
	s_waitcnt vmcnt(4)
	v_mov_b32_e32 v0, v17
	v_pk_fma_f32 v[10:11], v[46:47], v[12:13], v[2:3] op_sel:[0,0,1] op_sel_hi:[1,1,0] neg_lo:[0,0,1] neg_hi:[0,0,1]
	v_pk_fma_f32 v[2:3], v[46:47], v[12:13], v[2:3] op_sel:[0,0,1] op_sel_hi:[1,0,0]
	s_nop 0
	v_mov_b32_e32 v11, v3
	v_pk_mul_f32 v[2:3], v[48:49], v[14:15] op_sel:[0,1]
	s_nop 0
	v_pk_fma_f32 v[12:13], v[48:49], v[14:15], v[2:3] op_sel:[0,0,1] op_sel_hi:[1,1,0] neg_lo:[0,0,1] neg_hi:[0,0,1]
	v_pk_fma_f32 v[2:3], v[48:49], v[14:15], v[2:3] op_sel:[0,0,1] op_sel_hi:[1,0,0]
	s_nop 0
	v_mov_b32_e32 v13, v3
	v_pk_mul_f32 v[2:3], v[50:51], v[0:1] op_sel_hi:[1,0]
	s_waitcnt vmcnt(3)
	v_mov_b32_e32 v0, v21
	v_pk_fma_f32 v[14:15], v[50:51], v[16:17], v[2:3] op_sel:[0,0,1] op_sel_hi:[1,1,0] neg_lo:[0,0,1] neg_hi:[0,0,1]
	v_pk_fma_f32 v[2:3], v[50:51], v[16:17], v[2:3] op_sel:[0,0,1] op_sel_hi:[1,0,0]
	s_nop 0
	v_mov_b32_e32 v15, v3
	v_pk_mul_f32 v[2:3], v[52:53], v[18:19] op_sel:[0,1]
	s_nop 0
	v_pk_fma_f32 v[16:17], v[52:53], v[18:19], v[2:3] op_sel:[0,0,1] op_sel_hi:[1,1,0] neg_lo:[0,0,1] neg_hi:[0,0,1]
	v_pk_fma_f32 v[2:3], v[52:53], v[18:19], v[2:3] op_sel:[0,0,1] op_sel_hi:[1,0,0]
	s_nop 0
	v_mov_b32_e32 v17, v3
	v_pk_mul_f32 v[2:3], v[54:55], v[0:1] op_sel_hi:[1,0]
	s_waitcnt vmcnt(2)
	v_mov_b32_e32 v0, v25
	v_pk_fma_f32 v[18:19], v[54:55], v[20:21], v[2:3] op_sel:[0,0,1] op_sel_hi:[1,1,0] neg_lo:[0,0,1] neg_hi:[0,0,1]
	v_pk_fma_f32 v[2:3], v[54:55], v[20:21], v[2:3] op_sel:[0,0,1] op_sel_hi:[1,0,0]
	v_pk_add_f32 v[16:17], v[72:73], v[16:17] neg_lo:[0,1] neg_hi:[0,1]
	v_mov_b32_e32 v19, v3
	v_pk_mul_f32 v[2:3], v[56:57], v[22:23] op_sel:[0,1]
	v_pk_add_f32 v[18:19], v[38:39], v[18:19] neg_lo:[0,1] neg_hi:[0,1]
	v_pk_fma_f32 v[20:21], v[56:57], v[22:23], v[2:3] op_sel:[0,0,1] op_sel_hi:[1,1,0] neg_lo:[0,0,1] neg_hi:[0,0,1]
	v_pk_fma_f32 v[2:3], v[56:57], v[22:23], v[2:3] op_sel:[0,0,1] op_sel_hi:[1,0,0]
	s_nop 0
	v_mov_b32_e32 v21, v3
	v_pk_mul_f32 v[2:3], v[58:59], v[0:1] op_sel_hi:[1,0]
	s_waitcnt vmcnt(1)
	v_mov_b32_e32 v0, v29
	v_pk_fma_f32 v[22:23], v[58:59], v[24:25], v[2:3] op_sel:[0,0,1] op_sel_hi:[1,1,0] neg_lo:[0,0,1] neg_hi:[0,0,1]
	v_pk_fma_f32 v[2:3], v[58:59], v[24:25], v[2:3] op_sel:[0,0,1] op_sel_hi:[1,0,0]
	v_pk_add_f32 v[20:21], v[4:5], v[20:21] neg_lo:[0,1] neg_hi:[0,1]
	v_mov_b32_e32 v23, v3
	v_pk_mul_f32 v[2:3], v[60:61], v[26:27] op_sel:[0,1]
	v_pk_add_f32 v[22:23], v[6:7], v[22:23] neg_lo:[0,1] neg_hi:[0,1]
	v_pk_fma_f32 v[24:25], v[60:61], v[26:27], v[2:3] op_sel:[0,0,1] op_sel_hi:[1,1,0] neg_lo:[0,0,1] neg_hi:[0,0,1]
	v_pk_fma_f32 v[2:3], v[60:61], v[26:27], v[2:3] op_sel:[0,0,1] op_sel_hi:[1,0,0]
	v_pk_fma_f32 v[6:7], v[6:7], 2.0, v[22:23] op_sel_hi:[1,0,1] neg_lo:[0,0,1] neg_hi:[0,0,1]
	v_mov_b32_e32 v25, v3
	v_pk_mul_f32 v[2:3], v[62:63], v[0:1] op_sel_hi:[1,0]
	v_pk_add_f32 v[24:25], v[8:9], v[24:25] neg_lo:[0,1] neg_hi:[0,1]
	v_pk_fma_f32 v[26:27], v[62:63], v[28:29], v[2:3] op_sel:[0,0,1] op_sel_hi:[1,1,0] neg_lo:[0,0,1] neg_hi:[0,0,1]
	v_pk_fma_f32 v[2:3], v[62:63], v[28:29], v[2:3] op_sel:[0,0,1] op_sel_hi:[1,0,0]
	v_pk_fma_f32 v[8:9], v[8:9], 2.0, v[24:25] op_sel_hi:[1,0,1] neg_lo:[0,0,1] neg_hi:[0,0,1]
	v_mov_b32_e32 v27, v3
	s_waitcnt vmcnt(0)
	v_pk_mul_f32 v[2:3], v[64:65], v[30:31] op_sel:[0,1]
	v_pk_add_f32 v[26:27], v[10:11], v[26:27] neg_lo:[0,1] neg_hi:[0,1]
	v_pk_fma_f32 v[28:29], v[64:65], v[30:31], v[2:3] op_sel:[0,0,1] op_sel_hi:[1,1,0] neg_lo:[0,0,1] neg_hi:[0,0,1]
	v_pk_fma_f32 v[2:3], v[64:65], v[30:31], v[2:3] op_sel:[0,0,1] op_sel_hi:[1,0,0]
	v_pk_fma_f32 v[10:11], v[10:11], 2.0, v[26:27] op_sel_hi:[1,0,1] neg_lo:[0,0,1] neg_hi:[0,0,1]
	v_mov_b32_e32 v29, v3
	v_pk_add_f32 v[2:3], v[68:69], v[14:15] neg_lo:[0,1] neg_hi:[0,1]
	v_pk_add_f32 v[28:29], v[12:13], v[28:29] neg_lo:[0,1] neg_hi:[0,1]
	v_pk_add_f32 v[40:41], v[2:3], v[22:23] op_sel:[0,1] op_sel_hi:[1,0] neg_lo:[0,1] neg_hi:[0,1]
	v_pk_add_f32 v[22:23], v[2:3], v[22:23] op_sel:[0,1] op_sel_hi:[1,0]
	v_pk_fma_f32 v[12:13], v[12:13], 2.0, v[28:29] op_sel_hi:[1,0,1] neg_lo:[0,0,1] neg_hi:[0,0,1]
	v_mov_b32_e32 v41, v23
	v_pk_add_f32 v[22:23], v[18:19], v[26:27] op_sel:[0,1] op_sel_hi:[1,0] neg_lo:[0,1] neg_hi:[0,1]
	v_pk_add_f32 v[26:27], v[18:19], v[26:27] op_sel:[0,1] op_sel_hi:[1,0]
	v_pk_fma_f32 v[14:15], v[68:69], 2.0, v[2:3] op_sel_hi:[1,0,1] neg_lo:[0,0,1] neg_hi:[0,0,1]
	v_mov_b32_e32 v23, v27
	;; [unrolled: 4-line block ×3, first 2 shown]
	v_pk_add_f32 v[24:25], v[20:21], v[28:29] op_sel:[0,1] op_sel_hi:[1,0] neg_lo:[0,1] neg_hi:[0,1]
	v_pk_add_f32 v[28:29], v[20:21], v[28:29] op_sel:[0,1] op_sel_hi:[1,0]
	v_pk_fma_f32 v[2:3], v[2:3], 2.0, v[40:41] op_sel_hi:[1,0,1] neg_lo:[0,0,1] neg_hi:[0,0,1]
	v_pk_fma_f32 v[18:19], v[18:19], 2.0, v[22:23] op_sel_hi:[1,0,1] neg_lo:[0,0,1] neg_hi:[0,0,1]
	v_mov_b32_e32 v25, v29
	v_pk_fma_f32 v[38:39], v[72:73], 2.0, v[16:17] op_sel_hi:[1,0,1] neg_lo:[0,0,1] neg_hi:[0,0,1]
	v_pk_fma_f32 v[4:5], v[4:5], 2.0, v[20:21] op_sel_hi:[1,0,1] neg_lo:[0,0,1] neg_hi:[0,0,1]
	;; [unrolled: 1-line block ×4, first 2 shown]
	v_pk_mul_f32 v[28:29], v[18:19], s[0:1] op_sel_hi:[1,0]
	v_pk_fma_f32 v[18:19], v[18:19], s[0:1], v[2:3] op_sel_hi:[1,0,1] neg_lo:[1,0,0] neg_hi:[1,0,0]
	v_pk_add_f32 v[6:7], v[14:15], v[6:7] neg_lo:[0,1] neg_hi:[0,1]
	v_pk_add_f32 v[42:43], v[18:19], v[28:29] op_sel:[0,1] op_sel_hi:[1,0] neg_lo:[0,1] neg_hi:[0,1]
	v_pk_add_f32 v[18:19], v[18:19], v[28:29] op_sel:[0,1] op_sel_hi:[1,0]
	v_pk_mul_f32 v[28:29], v[20:21], s[0:1] op_sel_hi:[1,0]
	v_pk_fma_f32 v[20:21], v[20:21], s[0:1], v[16:17] op_sel_hi:[1,0,1] neg_lo:[1,0,0] neg_hi:[1,0,0]
	v_pk_add_f32 v[10:11], v[30:31], v[10:11] neg_lo:[0,1] neg_hi:[0,1]
	v_pk_add_f32 v[44:45], v[20:21], v[28:29] op_sel:[0,1] op_sel_hi:[1,0] neg_lo:[0,1] neg_hi:[0,1]
	v_pk_add_f32 v[20:21], v[20:21], v[28:29] op_sel:[0,1] op_sel_hi:[1,0]
	v_pk_add_f32 v[8:9], v[38:39], v[8:9] neg_lo:[0,1] neg_hi:[0,1]
	v_pk_add_f32 v[12:13], v[4:5], v[12:13] neg_lo:[0,1] neg_hi:[0,1]
	v_mov_b32_e32 v43, v19
	v_mov_b32_e32 v45, v21
	v_pk_fma_f32 v[14:15], v[14:15], 2.0, v[6:7] op_sel_hi:[1,0,1] neg_lo:[0,0,1] neg_hi:[0,0,1]
	v_pk_fma_f32 v[30:31], v[30:31], 2.0, v[10:11] op_sel_hi:[1,0,1] neg_lo:[0,0,1] neg_hi:[0,0,1]
	;; [unrolled: 1-line block ×6, first 2 shown]
	v_pk_add_f32 v[30:31], v[14:15], v[30:31] neg_lo:[0,1] neg_hi:[0,1]
	v_pk_add_f32 v[4:5], v[38:39], v[4:5] neg_lo:[0,1] neg_hi:[0,1]
	v_pk_fma_f32 v[28:29], v[16:17], s[4:5], v[2:3] op_sel_hi:[1,0,1] neg_lo:[1,0,0] neg_hi:[1,0,0]
	v_pk_mul_f32 v[16:17], v[16:17], s[10:11] op_sel_hi:[1,0]
	v_pk_fma_f32 v[14:15], v[14:15], 2.0, v[30:31] op_sel_hi:[1,0,1] neg_lo:[0,0,1] neg_hi:[0,0,1]
	v_pk_fma_f32 v[38:39], v[38:39], 2.0, v[4:5] op_sel_hi:[1,0,1] neg_lo:[0,0,1] neg_hi:[0,0,1]
	v_pk_add_f32 v[46:47], v[28:29], v[16:17] op_sel:[0,1] op_sel_hi:[1,0] neg_lo:[0,1] neg_hi:[0,1]
	v_pk_add_f32 v[16:17], v[28:29], v[16:17] op_sel:[0,1] op_sel_hi:[1,0]
	v_pk_add_f32 v[38:39], v[14:15], v[38:39] neg_lo:[0,1] neg_hi:[0,1]
	v_mov_b32_e32 v47, v17
	v_pk_fma_f32 v[14:15], v[14:15], 2.0, v[38:39] op_sel_hi:[1,0,1] neg_lo:[0,0,1] neg_hi:[0,0,1]
	v_pk_fma_f32 v[2:3], v[2:3], 2.0, v[46:47] op_sel_hi:[1,0,1] neg_lo:[0,0,1] neg_hi:[0,0,1]
	ds_write2_b64 v37, v[14:15], v[2:3] offset1:34
	v_pk_add_f32 v[2:3], v[6:7], v[10:11] op_sel:[0,1] op_sel_hi:[1,0] neg_lo:[0,1] neg_hi:[0,1]
	v_pk_add_f32 v[10:11], v[6:7], v[10:11] op_sel:[0,1] op_sel_hi:[1,0]
	v_fmamk_f32 v0, v44, 0x3ec3ef15, v42
	v_mov_b32_e32 v3, v11
	v_pk_add_f32 v[10:11], v[8:9], v[12:13] op_sel:[0,1] op_sel_hi:[1,0] neg_lo:[0,1] neg_hi:[0,1]
	v_pk_add_f32 v[12:13], v[8:9], v[12:13] op_sel:[0,1] op_sel_hi:[1,0]
	v_pk_fma_f32 v[6:7], v[6:7], 2.0, v[2:3] op_sel_hi:[1,0,1] neg_lo:[0,0,1] neg_hi:[0,0,1]
	v_mov_b32_e32 v11, v13
	v_pk_fma_f32 v[8:9], v[8:9], 2.0, v[10:11] op_sel_hi:[1,0,1] neg_lo:[0,0,1] neg_hi:[0,0,1]
	v_fmamk_f32 v17, v21, 0x3ec3ef15, v19
	v_pk_mul_f32 v[12:13], v[8:9], s[0:1] op_sel_hi:[1,0]
	v_pk_fma_f32 v[8:9], v[8:9], s[0:1], v[6:7] op_sel_hi:[1,0,1] neg_lo:[1,0,0] neg_hi:[1,0,0]
	v_fmamk_f32 v16, v21, 0xbf6c835e, v0
	v_pk_add_f32 v[14:15], v[8:9], v[12:13] op_sel:[0,1] op_sel_hi:[1,0] neg_lo:[0,1] neg_hi:[0,1]
	v_pk_add_f32 v[8:9], v[8:9], v[12:13] op_sel:[0,1] op_sel_hi:[1,0]
	v_pk_fma_f32 v[12:13], v[22:23], s[0:1], v[40:41] op_sel_hi:[1,0,1]
	v_mov_b32_e32 v15, v9
	v_pk_mul_f32 v[8:9], v[22:23], s[0:1] op_sel_hi:[1,0]
	v_pk_mul_f32 v[22:23], v[24:25], s[0:1] op_sel_hi:[1,0]
	v_pk_fma_f32 v[24:25], v[24:25], s[0:1], v[26:27] op_sel_hi:[1,0,1]
	v_pk_add_f32 v[20:21], v[12:13], v[8:9] op_sel:[0,1] op_sel_hi:[1,0] neg_lo:[0,1] neg_hi:[0,1]
	v_pk_add_f32 v[8:9], v[12:13], v[8:9] op_sel:[0,1] op_sel_hi:[1,0]
	v_pk_add_f32 v[28:29], v[24:25], v[22:23] op_sel:[0,1] op_sel_hi:[1,0] neg_lo:[0,1] neg_hi:[0,1]
	v_pk_add_f32 v[22:23], v[24:25], v[22:23] op_sel:[0,1] op_sel_hi:[1,0]
	v_mov_b32_e32 v21, v9
	v_mov_b32_e32 v29, v23
	v_pk_fma_f32 v[12:13], v[40:41], 2.0, v[20:21] op_sel_hi:[1,0,1] neg_lo:[0,0,1] neg_hi:[0,0,1]
	v_pk_fma_f32 v[24:25], v[26:27], 2.0, v[28:29] op_sel_hi:[1,0,1] neg_lo:[0,0,1] neg_hi:[0,0,1]
	;; [unrolled: 1-line block ×3, first 2 shown]
	v_pk_fma_f32 v[26:27], v[24:25], s[10:11], v[12:13] op_sel_hi:[1,0,1] neg_lo:[1,0,0] neg_hi:[1,0,0]
	v_pk_mul_f32 v[24:25], v[24:25], s[4:5] op_sel_hi:[1,0]
	v_fmac_f32_e32 v17, 0x3f6c835e, v44
	v_pk_add_f32 v[40:41], v[26:27], v[24:25] op_sel:[0,1] op_sel_hi:[1,0] neg_lo:[0,1] neg_hi:[0,1]
	v_pk_add_f32 v[24:25], v[26:27], v[24:25] op_sel:[0,1] op_sel_hi:[1,0]
	v_fma_f32 v18, v42, 2.0, -v16
	v_mov_b32_e32 v41, v25
	v_pk_fma_f32 v[12:13], v[12:13], 2.0, v[40:41] op_sel_hi:[1,0,1] neg_lo:[0,0,1] neg_hi:[0,0,1]
	ds_write2_b64 v37, v[6:7], v[12:13] offset0:68 offset1:102
	v_pk_add_f32 v[6:7], v[30:31], v[4:5] op_sel:[0,1] op_sel_hi:[1,0] neg_lo:[0,1] neg_hi:[0,1]
	v_pk_add_f32 v[4:5], v[30:31], v[4:5] op_sel:[0,1] op_sel_hi:[1,0]
	v_fma_f32 v19, v19, 2.0, -v17
	v_mov_b32_e32 v7, v5
	v_pk_fma_f32 v[4:5], v[30:31], 2.0, v[6:7] op_sel_hi:[1,0,1] neg_lo:[0,0,1] neg_hi:[0,0,1]
	ds_write2_b64 v37, v[4:5], v[18:19] offset0:136 offset1:170
	v_pk_mul_f32 v[4:5], v[10:11], s[0:1] op_sel_hi:[1,0]
	v_pk_fma_f32 v[10:11], v[10:11], s[0:1], v[2:3] op_sel_hi:[1,0,1]
	v_fmamk_f32 v0, v28, 0x3f6c835e, v20
	v_fmamk_f32 v25, v23, 0x3f6c835e, v9
	v_pk_add_f32 v[12:13], v[10:11], v[4:5] op_sel:[0,1] op_sel_hi:[1,0] neg_lo:[0,1] neg_hi:[0,1]
	v_pk_add_f32 v[4:5], v[10:11], v[4:5] op_sel:[0,1] op_sel_hi:[1,0]
	v_fmamk_f32 v24, v23, 0xbec3ef15, v0
	v_fmac_f32_e32 v25, 0x3ec3ef15, v28
	v_mov_b32_e32 v13, v5
	v_fma_f32 v8, v20, 2.0, -v24
	v_fma_f32 v9, v9, 2.0, -v25
	v_pk_fma_f32 v[2:3], v[2:3], 2.0, v[12:13] op_sel_hi:[1,0,1] neg_lo:[0,0,1] neg_hi:[0,0,1]
	ds_write2_b64 v37, v[2:3], v[8:9] offset0:204 offset1:238
	ds_write2_b64 v77, v[38:39], v[46:47] offset0:16 offset1:50
	;; [unrolled: 1-line block ×5, first 2 shown]
	s_waitcnt lgkmcnt(0)
	s_barrier
	ds_read_b64 v[4:5], v75
	s_add_u32 s4, s8, 0x1078
	s_addc_u32 s5, s9, 0
	v_sub_u32_e32 v0, v74, v76
	v_cmp_ne_u32_e64 s[0:1], 0, v36
                                        ; implicit-def: $vgpr3
                                        ; implicit-def: $vgpr8
                                        ; implicit-def: $vgpr6_vgpr7
	s_and_saveexec_b64 s[8:9], s[0:1]
	s_xor_b64 s[0:1], exec, s[8:9]
	s_cbranch_execz .LBB0_16
; %bb.15:
	v_mov_b32_e32 v37, v1
	v_lshl_add_u64 v[2:3], v[36:37], 3, s[4:5]
	global_load_dwordx2 v[2:3], v[2:3], off
	ds_read_b64 v[6:7], v0 offset:4352
	s_waitcnt lgkmcnt(0)
	v_pk_add_f32 v[8:9], v[6:7], v[4:5]
	v_pk_add_f32 v[4:5], v[4:5], v[6:7] neg_lo:[0,1] neg_hi:[0,1]
	v_pk_mul_f32 v[6:7], v[8:9], 0.5 op_sel_hi:[1,0]
	v_mul_f32_e32 v1, 0.5, v4
	v_mul_f32_e32 v11, 0.5, v5
	s_waitcnt vmcnt(0)
	v_mul_f32_e32 v4, v3, v1
	v_mov_b32_e32 v5, v2
	v_fma_f32 v10, v3, v1, v6
	v_fma_f32 v12, v7, v3, v11
	v_fma_f32 v3, v7, v3, -v11
	v_pk_mul_f32 v[6:7], v[6:7], v[4:5]
	v_pk_fma_f32 v[4:5], v[8:9], 0.5, v[4:5] op_sel_hi:[1,0,1] neg_lo:[0,0,1] neg_hi:[0,0,1]
	v_mov_b32_e32 v11, v7
	v_fma_f32 v5, -v2, v1, v12
	v_fma_f32 v2, -v2, v1, v3
	v_mov_b32_e32 v1, v4
	ds_write_b32 v75, v5 offset:4
	ds_write_b32 v0, v2 offset:4356
	v_add_f32_e32 v8, v7, v10
	v_pk_add_f32 v[2:3], v[0:1], v[10:11] neg_lo:[0,1] neg_hi:[0,1]
	v_mov_b64_e32 v[6:7], v[36:37]
                                        ; implicit-def: $vgpr4_vgpr5
.LBB0_16:
	s_andn2_saveexec_b64 s[0:1], s[0:1]
	s_cbranch_execz .LBB0_18
; %bb.17:
	v_mov_b32_e32 v1, 0
	ds_write_b32 v75, v1 offset:4
	ds_write_b32 v0, v1 offset:4356
	ds_read_b32 v1, v74 offset:2180
	s_waitcnt lgkmcnt(3)
	v_pk_add_f32 v[2:3], v[4:5], v[4:5] op_sel:[0,1] op_sel_hi:[0,1] neg_lo:[0,1] neg_hi:[0,1]
	v_add_f32_e32 v8, v4, v5
	v_mov_b64_e32 v[6:7], 0
	s_waitcnt lgkmcnt(0)
	v_xor_b32_e32 v1, 0x80000000, v1
	ds_write_b32 v74, v1 offset:2180
.LBB0_18:
	s_or_b64 exec, exec, s[0:1]
	s_waitcnt lgkmcnt(0)
	v_lshl_add_u64 v[4:5], v[6:7], 3, s[4:5]
	global_load_dwordx2 v[6:7], v[4:5], off offset:272
	global_load_dwordx2 v[10:11], v[4:5], off offset:544
	;; [unrolled: 1-line block ×4, first 2 shown]
	ds_write_b32 v75, v8
	ds_write_b32 v0, v3 offset:4352
	ds_read_b64 v[2:3], v75 offset:272
	ds_read_b64 v[8:9], v0 offset:4080
	global_load_dwordx2 v[20:21], v[4:5], off offset:1360
	v_mov_b32_e32 v17, 0.5
	v_mov_b32_e32 v18, v17
	s_waitcnt lgkmcnt(0)
	v_pk_add_f32 v[22:23], v[2:3], v[8:9]
	v_pk_add_f32 v[2:3], v[2:3], v[8:9] neg_lo:[0,1] neg_hi:[0,1]
	v_mov_b32_e32 v8, v23
	v_mov_b32_e32 v9, v2
	v_pk_mul_f32 v[8:9], v[8:9], 0.5 op_sel_hi:[1,0]
	s_waitcnt vmcnt(4)
	v_mov_b32_e32 v19, v7
	v_mov_b32_e32 v23, v8
	;; [unrolled: 1-line block ×4, first 2 shown]
	v_pk_mul_f32 v[18:19], v[22:23], v[18:19]
	s_nop 0
	v_pk_fma_f32 v[22:23], v[16:17], v[2:3], v[18:19] neg_lo:[1,0,0] neg_hi:[1,0,0]
	v_pk_fma_f32 v[2:3], v[16:17], v[2:3], v[18:19]
	v_pk_fma_f32 v[18:19], v[6:7], v[8:9], v[22:23] op_sel_hi:[0,1,1] neg_lo:[1,0,0] neg_hi:[1,0,0]
	v_pk_fma_f32 v[22:23], v[6:7], v[8:9], v[2:3] op_sel_hi:[0,1,1]
	v_pk_fma_f32 v[2:3], v[6:7], v[8:9], v[2:3] op_sel_hi:[0,1,1] neg_lo:[1,0,0] neg_hi:[1,0,0]
	v_mov_b32_e32 v23, v3
	ds_write_b64 v75, v[22:23] offset:272
	ds_write_b64 v0, v[18:19] offset:4080
	ds_read_b64 v[2:3], v75 offset:544
	ds_read_b64 v[6:7], v0 offset:3808
	global_load_dwordx2 v[18:19], v[4:5], off offset:1632
	v_mov_b32_e32 v8, v17
	s_waitcnt vmcnt(4)
	v_mov_b32_e32 v9, v11
	v_mov_b32_e32 v16, v11
	s_waitcnt lgkmcnt(0)
	v_pk_add_f32 v[22:23], v[2:3], v[6:7]
	v_pk_add_f32 v[2:3], v[2:3], v[6:7] neg_lo:[0,1] neg_hi:[0,1]
	v_mov_b32_e32 v6, v23
	v_mov_b32_e32 v7, v2
	v_pk_mul_f32 v[6:7], v[6:7], 0.5 op_sel_hi:[1,0]
	s_nop 0
	v_mov_b32_e32 v23, v6
	v_mov_b32_e32 v2, v7
	v_pk_mul_f32 v[8:9], v[22:23], v[8:9]
	s_nop 0
	v_pk_fma_f32 v[22:23], v[16:17], v[2:3], v[8:9] neg_lo:[1,0,0] neg_hi:[1,0,0]
	v_pk_fma_f32 v[2:3], v[16:17], v[2:3], v[8:9]
	v_pk_fma_f32 v[8:9], v[10:11], v[6:7], v[22:23] op_sel_hi:[0,1,1] neg_lo:[1,0,0] neg_hi:[1,0,0]
	v_pk_fma_f32 v[22:23], v[10:11], v[6:7], v[2:3] op_sel_hi:[0,1,1]
	v_pk_fma_f32 v[2:3], v[10:11], v[6:7], v[2:3] op_sel_hi:[0,1,1] neg_lo:[1,0,0] neg_hi:[1,0,0]
	v_mov_b32_e32 v23, v3
	ds_write_b64 v75, v[22:23] offset:544
	ds_write_b64 v0, v[8:9] offset:3808
	ds_read_b64 v[2:3], v75 offset:816
	ds_read_b64 v[6:7], v0 offset:3536
	global_load_dwordx2 v[4:5], v[4:5], off offset:1904
	v_mov_b32_e32 v8, v17
	s_waitcnt vmcnt(4)
	v_mov_b32_e32 v9, v13
	v_mov_b32_e32 v16, v13
	s_waitcnt lgkmcnt(0)
	v_pk_add_f32 v[10:11], v[2:3], v[6:7]
	v_pk_add_f32 v[2:3], v[2:3], v[6:7] neg_lo:[0,1] neg_hi:[0,1]
	v_mov_b32_e32 v6, v11
	v_mov_b32_e32 v7, v2
	v_pk_mul_f32 v[6:7], v[6:7], 0.5 op_sel_hi:[1,0]
	s_nop 0
	v_mov_b32_e32 v11, v6
	v_mov_b32_e32 v2, v7
	v_pk_mul_f32 v[8:9], v[10:11], v[8:9]
	s_nop 0
	v_pk_fma_f32 v[10:11], v[16:17], v[2:3], v[8:9] neg_lo:[1,0,0] neg_hi:[1,0,0]
	v_pk_fma_f32 v[2:3], v[16:17], v[2:3], v[8:9]
	v_pk_fma_f32 v[8:9], v[12:13], v[6:7], v[10:11] op_sel_hi:[0,1,1] neg_lo:[1,0,0] neg_hi:[1,0,0]
	v_pk_fma_f32 v[10:11], v[12:13], v[6:7], v[2:3] op_sel_hi:[0,1,1]
	v_pk_fma_f32 v[2:3], v[12:13], v[6:7], v[2:3] op_sel_hi:[0,1,1] neg_lo:[1,0,0] neg_hi:[1,0,0]
	v_mov_b32_e32 v11, v3
	ds_write_b64 v75, v[10:11] offset:816
	ds_write_b64 v0, v[8:9] offset:3536
	ds_read_b64 v[2:3], v75 offset:1088
	ds_read_b64 v[6:7], v0 offset:3264
	v_mov_b32_e32 v8, v17
	s_waitcnt vmcnt(3)
	v_mov_b32_e32 v9, v15
	v_mov_b32_e32 v16, v15
	s_waitcnt lgkmcnt(0)
	v_pk_add_f32 v[10:11], v[2:3], v[6:7]
	v_pk_add_f32 v[2:3], v[2:3], v[6:7] neg_lo:[0,1] neg_hi:[0,1]
	v_mov_b32_e32 v6, v11
	v_mov_b32_e32 v7, v2
	v_pk_mul_f32 v[6:7], v[6:7], 0.5 op_sel_hi:[1,0]
	s_nop 0
	v_mov_b32_e32 v11, v6
	v_mov_b32_e32 v2, v7
	v_pk_mul_f32 v[8:9], v[10:11], v[8:9]
	s_nop 0
	v_pk_fma_f32 v[10:11], v[16:17], v[2:3], v[8:9] neg_lo:[1,0,0] neg_hi:[1,0,0]
	v_pk_fma_f32 v[2:3], v[16:17], v[2:3], v[8:9]
	v_pk_fma_f32 v[8:9], v[14:15], v[6:7], v[10:11] op_sel_hi:[0,1,1] neg_lo:[1,0,0] neg_hi:[1,0,0]
	v_pk_fma_f32 v[10:11], v[14:15], v[6:7], v[2:3] op_sel_hi:[0,1,1]
	v_pk_fma_f32 v[2:3], v[14:15], v[6:7], v[2:3] op_sel_hi:[0,1,1] neg_lo:[1,0,0] neg_hi:[1,0,0]
	v_mov_b32_e32 v11, v3
	ds_write_b64 v75, v[10:11] offset:1088
	ds_write_b64 v0, v[8:9] offset:3264
	ds_read_b64 v[2:3], v75 offset:1360
	ds_read_b64 v[6:7], v0 offset:2992
	;; [unrolled: 25-line block ×4, first 2 shown]
	v_mov_b32_e32 v8, v17
	s_waitcnt vmcnt(0)
	v_mov_b32_e32 v9, v5
	v_mov_b32_e32 v16, v5
	s_waitcnt lgkmcnt(0)
	v_pk_add_f32 v[10:11], v[2:3], v[6:7]
	v_pk_add_f32 v[2:3], v[2:3], v[6:7] neg_lo:[0,1] neg_hi:[0,1]
	v_mov_b32_e32 v6, v11
	v_mov_b32_e32 v7, v2
	v_pk_mul_f32 v[6:7], v[6:7], 0.5 op_sel_hi:[1,0]
	s_nop 0
	v_mov_b32_e32 v11, v6
	v_mov_b32_e32 v2, v7
	v_pk_mul_f32 v[8:9], v[10:11], v[8:9]
	s_nop 0
	v_pk_fma_f32 v[10:11], v[16:17], v[2:3], v[8:9] neg_lo:[1,0,0] neg_hi:[1,0,0]
	v_pk_fma_f32 v[2:3], v[16:17], v[2:3], v[8:9]
	v_pk_fma_f32 v[8:9], v[4:5], v[6:7], v[10:11] op_sel_hi:[0,1,1] neg_lo:[1,0,0] neg_hi:[1,0,0]
	v_pk_fma_f32 v[10:11], v[4:5], v[6:7], v[2:3] op_sel_hi:[0,1,1]
	v_pk_fma_f32 v[2:3], v[4:5], v[6:7], v[2:3] op_sel_hi:[0,1,1] neg_lo:[1,0,0] neg_hi:[1,0,0]
	v_mov_b32_e32 v11, v3
	ds_write_b64 v75, v[10:11] offset:1904
	ds_write_b64 v0, v[8:9] offset:2448
	s_waitcnt lgkmcnt(0)
	s_barrier
	s_and_saveexec_b64 s[0:1], vcc
	s_cbranch_execz .LBB0_21
; %bb.19:
	v_mul_lo_u32 v2, s3, v34
	v_mul_lo_u32 v3, s2, v35
	v_mad_u64_u32 v[0:1], s[0:1], s2, v34, 0
	v_add3_u32 v1, v1, v3, v2
	v_lshl_add_u32 v2, v36, 3, v74
	ds_read2_b64 v[4:7], v2 offset1:34
	v_lshl_add_u64 v[0:1], v[0:1], 3, s[6:7]
	v_mov_b32_e32 v37, 0
	v_lshl_add_u64 v[0:1], v[32:33], 3, v[0:1]
	v_lshl_add_u64 v[8:9], v[36:37], 3, v[0:1]
	s_waitcnt lgkmcnt(0)
	global_store_dwordx2 v[8:9], v[4:5], off
	ds_read2_b64 v[8:11], v2 offset0:68 offset1:102
	v_add_u32_e32 v4, 34, v36
	v_mov_b32_e32 v5, v37
	v_lshl_add_u64 v[4:5], v[4:5], 3, v[0:1]
	global_store_dwordx2 v[4:5], v[6:7], off
	v_add_u32_e32 v4, 0x44, v36
	v_mov_b32_e32 v5, v37
	v_lshl_add_u64 v[4:5], v[4:5], 3, v[0:1]
	s_waitcnt lgkmcnt(0)
	global_store_dwordx2 v[4:5], v[8:9], off
	v_add_u32_e32 v4, 0x66, v36
	v_mov_b32_e32 v5, v37
	v_lshl_add_u64 v[8:9], v[4:5], 3, v[0:1]
	ds_read2_b64 v[4:7], v2 offset0:136 offset1:170
	global_store_dwordx2 v[8:9], v[10:11], off
	v_add_u32_e32 v8, 0x88, v36
	v_mov_b32_e32 v9, v37
	v_lshl_add_u64 v[8:9], v[8:9], 3, v[0:1]
	s_waitcnt lgkmcnt(0)
	global_store_dwordx2 v[8:9], v[4:5], off
	ds_read2_b64 v[8:11], v2 offset0:204 offset1:238
	v_add_u32_e32 v4, 0xaa, v36
	v_mov_b32_e32 v5, v37
	v_lshl_add_u64 v[4:5], v[4:5], 3, v[0:1]
	global_store_dwordx2 v[4:5], v[6:7], off
	v_add_u32_e32 v4, 0xcc, v36
	v_mov_b32_e32 v5, v37
	v_lshl_add_u64 v[4:5], v[4:5], 3, v[0:1]
	s_waitcnt lgkmcnt(0)
	global_store_dwordx2 v[4:5], v[8:9], off
	v_add_u32_e32 v4, 0xee, v36
	v_mov_b32_e32 v5, v37
	v_add_u32_e32 v3, 0x800, v2
	v_lshl_add_u64 v[8:9], v[4:5], 3, v[0:1]
	ds_read2_b64 v[4:7], v3 offset0:16 offset1:50
	global_store_dwordx2 v[8:9], v[10:11], off
	v_add_u32_e32 v8, 0x110, v36
	v_mov_b32_e32 v9, v37
	v_lshl_add_u64 v[8:9], v[8:9], 3, v[0:1]
	s_waitcnt lgkmcnt(0)
	global_store_dwordx2 v[8:9], v[4:5], off
	ds_read2_b64 v[8:11], v3 offset0:84 offset1:118
	v_add_u32_e32 v4, 0x132, v36
	v_mov_b32_e32 v5, v37
	v_lshl_add_u64 v[4:5], v[4:5], 3, v[0:1]
	global_store_dwordx2 v[4:5], v[6:7], off
	v_add_u32_e32 v4, 0x154, v36
	v_mov_b32_e32 v5, v37
	v_lshl_add_u64 v[4:5], v[4:5], 3, v[0:1]
	s_waitcnt lgkmcnt(0)
	global_store_dwordx2 v[4:5], v[8:9], off
	v_add_u32_e32 v4, 0x176, v36
	v_mov_b32_e32 v5, v37
	v_lshl_add_u64 v[8:9], v[4:5], 3, v[0:1]
	ds_read2_b64 v[4:7], v3 offset0:152 offset1:186
	global_store_dwordx2 v[8:9], v[10:11], off
	v_add_u32_e32 v8, 0x198, v36
	v_mov_b32_e32 v9, v37
	v_lshl_add_u64 v[8:9], v[8:9], 3, v[0:1]
	s_waitcnt lgkmcnt(0)
	global_store_dwordx2 v[8:9], v[4:5], off
	ds_read2_b64 v[8:11], v3 offset0:220 offset1:254
	v_add_u32_e32 v4, 0x1ba, v36
	v_mov_b32_e32 v5, v37
	v_lshl_add_u64 v[4:5], v[4:5], 3, v[0:1]
	global_store_dwordx2 v[4:5], v[6:7], off
	v_add_u32_e32 v4, 0x1dc, v36
	v_mov_b32_e32 v5, v37
	v_lshl_add_u64 v[4:5], v[4:5], 3, v[0:1]
	s_waitcnt lgkmcnt(0)
	global_store_dwordx2 v[4:5], v[8:9], off
	v_add_u32_e32 v4, 0x1fe, v36
	v_mov_b32_e32 v5, v37
	v_lshl_add_u64 v[4:5], v[4:5], 3, v[0:1]
	v_cmp_eq_u32_e32 vcc, 33, v36
	global_store_dwordx2 v[4:5], v[10:11], off
	s_and_b64 exec, exec, vcc
	s_cbranch_execz .LBB0_21
; %bb.20:
	ds_read_b64 v[2:3], v2 offset:4088
	v_add_co_u32_e32 v0, vcc, 0x1000, v0
	s_nop 1
	v_addc_co_u32_e32 v1, vcc, 0, v1, vcc
	s_waitcnt lgkmcnt(0)
	global_store_dwordx2 v[0:1], v[2:3], off offset:256
.LBB0_21:
	s_endpgm
	.section	.rodata,"a",@progbits
	.p2align	6, 0x0
	.amdhsa_kernel fft_rtc_fwd_len544_factors_17_2_16_wgs_102_tpt_34_halfLds_sp_op_CI_CI_unitstride_sbrr_R2C_dirReg
		.amdhsa_group_segment_fixed_size 0
		.amdhsa_private_segment_fixed_size 0
		.amdhsa_kernarg_size 104
		.amdhsa_user_sgpr_count 2
		.amdhsa_user_sgpr_dispatch_ptr 0
		.amdhsa_user_sgpr_queue_ptr 0
		.amdhsa_user_sgpr_kernarg_segment_ptr 1
		.amdhsa_user_sgpr_dispatch_id 0
		.amdhsa_user_sgpr_kernarg_preload_length 0
		.amdhsa_user_sgpr_kernarg_preload_offset 0
		.amdhsa_user_sgpr_private_segment_size 0
		.amdhsa_uses_dynamic_stack 0
		.amdhsa_enable_private_segment 0
		.amdhsa_system_sgpr_workgroup_id_x 1
		.amdhsa_system_sgpr_workgroup_id_y 0
		.amdhsa_system_sgpr_workgroup_id_z 0
		.amdhsa_system_sgpr_workgroup_info 0
		.amdhsa_system_vgpr_workitem_id 0
		.amdhsa_next_free_vgpr 288
		.amdhsa_next_free_sgpr 68
		.amdhsa_accum_offset 256
		.amdhsa_reserve_vcc 1
		.amdhsa_float_round_mode_32 0
		.amdhsa_float_round_mode_16_64 0
		.amdhsa_float_denorm_mode_32 3
		.amdhsa_float_denorm_mode_16_64 3
		.amdhsa_dx10_clamp 1
		.amdhsa_ieee_mode 1
		.amdhsa_fp16_overflow 0
		.amdhsa_tg_split 0
		.amdhsa_exception_fp_ieee_invalid_op 0
		.amdhsa_exception_fp_denorm_src 0
		.amdhsa_exception_fp_ieee_div_zero 0
		.amdhsa_exception_fp_ieee_overflow 0
		.amdhsa_exception_fp_ieee_underflow 0
		.amdhsa_exception_fp_ieee_inexact 0
		.amdhsa_exception_int_div_zero 0
	.end_amdhsa_kernel
	.text
.Lfunc_end0:
	.size	fft_rtc_fwd_len544_factors_17_2_16_wgs_102_tpt_34_halfLds_sp_op_CI_CI_unitstride_sbrr_R2C_dirReg, .Lfunc_end0-fft_rtc_fwd_len544_factors_17_2_16_wgs_102_tpt_34_halfLds_sp_op_CI_CI_unitstride_sbrr_R2C_dirReg
                                        ; -- End function
	.section	.AMDGPU.csdata,"",@progbits
; Kernel info:
; codeLenInByte = 11524
; NumSgprs: 74
; NumVgprs: 256
; NumAgprs: 32
; TotalNumVgprs: 288
; ScratchSize: 0
; MemoryBound: 0
; FloatMode: 240
; IeeeMode: 1
; LDSByteSize: 0 bytes/workgroup (compile time only)
; SGPRBlocks: 9
; VGPRBlocks: 35
; NumSGPRsForWavesPerEU: 74
; NumVGPRsForWavesPerEU: 288
; AccumOffset: 256
; Occupancy: 1
; WaveLimiterHint : 1
; COMPUTE_PGM_RSRC2:SCRATCH_EN: 0
; COMPUTE_PGM_RSRC2:USER_SGPR: 2
; COMPUTE_PGM_RSRC2:TRAP_HANDLER: 0
; COMPUTE_PGM_RSRC2:TGID_X_EN: 1
; COMPUTE_PGM_RSRC2:TGID_Y_EN: 0
; COMPUTE_PGM_RSRC2:TGID_Z_EN: 0
; COMPUTE_PGM_RSRC2:TIDIG_COMP_CNT: 0
; COMPUTE_PGM_RSRC3_GFX90A:ACCUM_OFFSET: 63
; COMPUTE_PGM_RSRC3_GFX90A:TG_SPLIT: 0
	.text
	.p2alignl 6, 3212836864
	.fill 256, 4, 3212836864
	.type	__hip_cuid_4018c75b5f3ae3cb,@object ; @__hip_cuid_4018c75b5f3ae3cb
	.section	.bss,"aw",@nobits
	.globl	__hip_cuid_4018c75b5f3ae3cb
__hip_cuid_4018c75b5f3ae3cb:
	.byte	0                               ; 0x0
	.size	__hip_cuid_4018c75b5f3ae3cb, 1

	.ident	"AMD clang version 19.0.0git (https://github.com/RadeonOpenCompute/llvm-project roc-6.4.0 25133 c7fe45cf4b819c5991fe208aaa96edf142730f1d)"
	.section	".note.GNU-stack","",@progbits
	.addrsig
	.addrsig_sym __hip_cuid_4018c75b5f3ae3cb
	.amdgpu_metadata
---
amdhsa.kernels:
  - .agpr_count:     32
    .args:
      - .actual_access:  read_only
        .address_space:  global
        .offset:         0
        .size:           8
        .value_kind:     global_buffer
      - .offset:         8
        .size:           8
        .value_kind:     by_value
      - .actual_access:  read_only
        .address_space:  global
        .offset:         16
        .size:           8
        .value_kind:     global_buffer
      - .actual_access:  read_only
        .address_space:  global
        .offset:         24
        .size:           8
        .value_kind:     global_buffer
      - .actual_access:  read_only
        .address_space:  global
        .offset:         32
        .size:           8
        .value_kind:     global_buffer
      - .offset:         40
        .size:           8
        .value_kind:     by_value
      - .actual_access:  read_only
        .address_space:  global
        .offset:         48
        .size:           8
        .value_kind:     global_buffer
      - .actual_access:  read_only
        .address_space:  global
        .offset:         56
        .size:           8
        .value_kind:     global_buffer
      - .offset:         64
        .size:           4
        .value_kind:     by_value
      - .actual_access:  read_only
        .address_space:  global
        .offset:         72
        .size:           8
        .value_kind:     global_buffer
      - .actual_access:  read_only
        .address_space:  global
        .offset:         80
        .size:           8
        .value_kind:     global_buffer
      - .actual_access:  read_only
        .address_space:  global
        .offset:         88
        .size:           8
        .value_kind:     global_buffer
      - .actual_access:  write_only
        .address_space:  global
        .offset:         96
        .size:           8
        .value_kind:     global_buffer
    .group_segment_fixed_size: 0
    .kernarg_segment_align: 8
    .kernarg_segment_size: 104
    .language:       OpenCL C
    .language_version:
      - 2
      - 0
    .max_flat_workgroup_size: 102
    .name:           fft_rtc_fwd_len544_factors_17_2_16_wgs_102_tpt_34_halfLds_sp_op_CI_CI_unitstride_sbrr_R2C_dirReg
    .private_segment_fixed_size: 0
    .sgpr_count:     74
    .sgpr_spill_count: 0
    .symbol:         fft_rtc_fwd_len544_factors_17_2_16_wgs_102_tpt_34_halfLds_sp_op_CI_CI_unitstride_sbrr_R2C_dirReg.kd
    .uniform_work_group_size: 1
    .uses_dynamic_stack: false
    .vgpr_count:     288
    .vgpr_spill_count: 0
    .wavefront_size: 64
amdhsa.target:   amdgcn-amd-amdhsa--gfx950
amdhsa.version:
  - 1
  - 2
...

	.end_amdgpu_metadata
